;; amdgpu-corpus repo=pytorch/pytorch kind=compiled arch=gfx906 opt=O3
	.amdgcn_target "amdgcn-amd-amdhsa--gfx906"
	.amdhsa_code_object_version 6
	.section	.text._ZN2at6native12_GLOBAL__N_140fractional_max_pool3d_backward_out_frameIdEEvN5torch10headeronly6detail27GenericPackedTensorAccessorINS5_14TensorAccessorIN3c108ArrayRefIlEET_Lm4ENS4_16DefaultPtrTraitsElEENS_6detail16IndexBoundsCheckILm5ElEESB_Lm5ESC_lEENS6_INS7_ISA_KSB_Lm4ESC_lEESG_SI_Lm5ESC_lEENS6_INS7_ISA_KlLm4ESC_lEESG_SL_Lm5ESC_lEE,"axG",@progbits,_ZN2at6native12_GLOBAL__N_140fractional_max_pool3d_backward_out_frameIdEEvN5torch10headeronly6detail27GenericPackedTensorAccessorINS5_14TensorAccessorIN3c108ArrayRefIlEET_Lm4ENS4_16DefaultPtrTraitsElEENS_6detail16IndexBoundsCheckILm5ElEESB_Lm5ESC_lEENS6_INS7_ISA_KSB_Lm4ESC_lEESG_SI_Lm5ESC_lEENS6_INS7_ISA_KlLm4ESC_lEESG_SL_Lm5ESC_lEE,comdat
	.globl	_ZN2at6native12_GLOBAL__N_140fractional_max_pool3d_backward_out_frameIdEEvN5torch10headeronly6detail27GenericPackedTensorAccessorINS5_14TensorAccessorIN3c108ArrayRefIlEET_Lm4ENS4_16DefaultPtrTraitsElEENS_6detail16IndexBoundsCheckILm5ElEESB_Lm5ESC_lEENS6_INS7_ISA_KSB_Lm4ESC_lEESG_SI_Lm5ESC_lEENS6_INS7_ISA_KlLm4ESC_lEESG_SL_Lm5ESC_lEE ; -- Begin function _ZN2at6native12_GLOBAL__N_140fractional_max_pool3d_backward_out_frameIdEEvN5torch10headeronly6detail27GenericPackedTensorAccessorINS5_14TensorAccessorIN3c108ArrayRefIlEET_Lm4ENS4_16DefaultPtrTraitsElEENS_6detail16IndexBoundsCheckILm5ElEESB_Lm5ESC_lEENS6_INS7_ISA_KSB_Lm4ESC_lEESG_SI_Lm5ESC_lEENS6_INS7_ISA_KlLm4ESC_lEESG_SL_Lm5ESC_lEE
	.p2align	8
	.type	_ZN2at6native12_GLOBAL__N_140fractional_max_pool3d_backward_out_frameIdEEvN5torch10headeronly6detail27GenericPackedTensorAccessorINS5_14TensorAccessorIN3c108ArrayRefIlEET_Lm4ENS4_16DefaultPtrTraitsElEENS_6detail16IndexBoundsCheckILm5ElEESB_Lm5ESC_lEENS6_INS7_ISA_KSB_Lm4ESC_lEESG_SI_Lm5ESC_lEENS6_INS7_ISA_KlLm4ESC_lEESG_SL_Lm5ESC_lEE,@function
_ZN2at6native12_GLOBAL__N_140fractional_max_pool3d_backward_out_frameIdEEvN5torch10headeronly6detail27GenericPackedTensorAccessorINS5_14TensorAccessorIN3c108ArrayRefIlEET_Lm4ENS4_16DefaultPtrTraitsElEENS_6detail16IndexBoundsCheckILm5ElEESB_Lm5ESC_lEENS6_INS7_ISA_KSB_Lm4ESC_lEESG_SI_Lm5ESC_lEENS6_INS7_ISA_KlLm4ESC_lEESG_SL_Lm5ESC_lEE: ; @_ZN2at6native12_GLOBAL__N_140fractional_max_pool3d_backward_out_frameIdEEvN5torch10headeronly6detail27GenericPackedTensorAccessorINS5_14TensorAccessorIN3c108ArrayRefIlEET_Lm4ENS4_16DefaultPtrTraitsElEENS_6detail16IndexBoundsCheckILm5ElEESB_Lm5ESC_lEENS6_INS7_ISA_KSB_Lm4ESC_lEESG_SI_Lm5ESC_lEENS6_INS7_ISA_KlLm4ESC_lEESG_SL_Lm5ESC_lEE
; %bb.0:
	s_load_dword s0, s[4:5], 0x114
	s_load_dwordx4 s[12:15], s[4:5], 0x70
	s_load_dwordx2 s[10:11], s[4:5], 0x80
	v_mov_b32_e32 v2, 0
	v_mov_b32_e32 v1, v2
	;; [unrolled: 1-line block ×3, first 2 shown]
	s_waitcnt lgkmcnt(0)
	s_and_b32 s0, s0, 0xffff
	v_mad_u64_u32 v[4:5], s[0:1], s0, v3, v[0:1]
	s_mul_i32 s0, s10, s15
	s_mul_hi_u32 s1, s10, s14
	s_add_i32 s9, s1, s0
	s_mul_i32 s0, s11, s14
	s_mul_i32 s6, s10, s14
	s_add_i32 s9, s9, s0
	s_mul_i32 s0, s6, s13
	s_mul_hi_u32 s1, s6, s12
	s_add_i32 s0, s1, s0
	s_mul_i32 s1, s9, s12
	s_add_i32 s1, s0, s1
	s_mul_i32 s0, s6, s12
	v_cmp_gt_i64_e32 vcc, s[0:1], v[4:5]
	s_and_saveexec_b64 s[0:1], vcc
	s_cbranch_execz .LBB0_35
; %bb.1:
	v_or_b32_e32 v3, s11, v5
	v_cmp_ne_u64_e32 vcc, 0, v[2:3]
                                        ; implicit-def: $vgpr6_vgpr7
	s_and_saveexec_b64 s[0:1], vcc
	s_xor_b64 s[2:3], exec, s[0:1]
	s_cbranch_execz .LBB0_3
; %bb.2:
	s_ashr_i32 s12, s11, 31
	s_add_u32 s0, s10, s12
	s_mov_b32 s13, s12
	s_addc_u32 s1, s11, s12
	s_xor_b64 s[16:17], s[0:1], s[12:13]
	v_cvt_f32_u32_e32 v0, s16
	v_cvt_f32_u32_e32 v1, s17
	s_sub_u32 s13, 0, s16
	s_subb_u32 s18, 0, s17
	v_ashrrev_i32_e32 v6, 31, v5
	v_madmk_f32 v0, v1, 0x4f800000, v0
	v_rcp_f32_e32 v0, v0
	v_mul_f32_e32 v0, 0x5f7ffffc, v0
	v_mul_f32_e32 v1, 0x2f800000, v0
	v_trunc_f32_e32 v1, v1
	v_madmk_f32 v0, v1, 0xcf800000, v0
	v_cvt_u32_f32_e32 v1, v1
	v_cvt_u32_f32_e32 v0, v0
	v_readfirstlane_b32 s19, v1
	v_readfirstlane_b32 s0, v0
	s_mul_i32 s1, s13, s19
	s_mul_hi_u32 s21, s13, s0
	s_mul_i32 s20, s18, s0
	s_add_i32 s1, s21, s1
	s_add_i32 s1, s1, s20
	s_mul_i32 s22, s13, s0
	s_mul_i32 s21, s0, s1
	s_mul_hi_u32 s23, s0, s22
	s_mul_hi_u32 s20, s0, s1
	s_add_u32 s21, s23, s21
	s_addc_u32 s20, 0, s20
	s_mul_hi_u32 s24, s19, s22
	s_mul_i32 s22, s19, s22
	s_add_u32 s21, s21, s22
	s_mul_hi_u32 s23, s19, s1
	s_addc_u32 s20, s20, s24
	s_addc_u32 s21, s23, 0
	s_mul_i32 s1, s19, s1
	s_add_u32 s1, s20, s1
	s_addc_u32 s20, 0, s21
	s_add_u32 s21, s0, s1
	s_cselect_b64 s[0:1], -1, 0
	s_cmp_lg_u64 s[0:1], 0
	s_addc_u32 s19, s19, s20
	s_mul_i32 s0, s13, s19
	s_mul_hi_u32 s1, s13, s21
	s_add_i32 s0, s1, s0
	s_mul_i32 s18, s18, s21
	s_add_i32 s0, s0, s18
	s_mul_i32 s13, s13, s21
	s_mul_hi_u32 s18, s19, s13
	s_mul_i32 s20, s19, s13
	s_mul_i32 s23, s21, s0
	s_mul_hi_u32 s13, s21, s13
	s_mul_hi_u32 s22, s21, s0
	s_add_u32 s13, s13, s23
	s_addc_u32 s22, 0, s22
	s_add_u32 s13, s13, s20
	s_mul_hi_u32 s1, s19, s0
	s_addc_u32 s13, s22, s18
	s_addc_u32 s1, s1, 0
	s_mul_i32 s0, s19, s0
	s_add_u32 s0, s13, s0
	s_addc_u32 s13, 0, s1
	s_add_u32 s18, s21, s0
	s_cselect_b64 s[0:1], -1, 0
	s_cmp_lg_u64 s[0:1], 0
	v_add_co_u32_e32 v0, vcc, v4, v6
	s_addc_u32 s13, s19, s13
	v_xor_b32_e32 v7, v0, v6
	v_mad_u64_u32 v[0:1], s[0:1], v7, s13, 0
	v_mul_hi_u32 v3, v7, s18
	v_addc_co_u32_e32 v2, vcc, v5, v6, vcc
	v_xor_b32_e32 v8, v2, v6
	v_add_co_u32_e32 v9, vcc, v3, v0
	v_addc_co_u32_e32 v10, vcc, 0, v1, vcc
	v_mad_u64_u32 v[0:1], s[0:1], v8, s18, 0
	v_mad_u64_u32 v[2:3], s[0:1], v8, s13, 0
	v_add_co_u32_e32 v0, vcc, v9, v0
	v_addc_co_u32_e32 v0, vcc, v10, v1, vcc
	v_addc_co_u32_e32 v1, vcc, 0, v3, vcc
	v_add_co_u32_e32 v2, vcc, v0, v2
	v_addc_co_u32_e32 v3, vcc, 0, v1, vcc
	v_mul_lo_u32 v9, s17, v2
	v_mul_lo_u32 v10, s16, v3
	v_mad_u64_u32 v[0:1], s[0:1], s16, v2, 0
	v_add3_u32 v1, v1, v10, v9
	v_sub_u32_e32 v9, v8, v1
	v_mov_b32_e32 v10, s17
	v_sub_co_u32_e32 v0, vcc, v7, v0
	v_subb_co_u32_e64 v7, s[0:1], v9, v10, vcc
	v_subrev_co_u32_e64 v9, s[0:1], s16, v0
	v_subbrev_co_u32_e64 v7, s[0:1], 0, v7, s[0:1]
	v_cmp_le_u32_e64 s[0:1], s17, v7
	v_cndmask_b32_e64 v10, 0, -1, s[0:1]
	v_cmp_le_u32_e64 s[0:1], s16, v9
	v_cndmask_b32_e64 v9, 0, -1, s[0:1]
	v_cmp_eq_u32_e64 s[0:1], s17, v7
	v_cndmask_b32_e64 v7, v10, v9, s[0:1]
	v_add_co_u32_e64 v9, s[0:1], 2, v2
	v_subb_co_u32_e32 v1, vcc, v8, v1, vcc
	v_addc_co_u32_e64 v10, s[0:1], 0, v3, s[0:1]
	v_cmp_le_u32_e32 vcc, s17, v1
	v_add_co_u32_e64 v11, s[0:1], 1, v2
	v_cndmask_b32_e64 v8, 0, -1, vcc
	v_cmp_le_u32_e32 vcc, s16, v0
	v_addc_co_u32_e64 v12, s[0:1], 0, v3, s[0:1]
	v_cndmask_b32_e64 v0, 0, -1, vcc
	v_cmp_eq_u32_e32 vcc, s17, v1
	v_cmp_ne_u32_e64 s[0:1], 0, v7
	v_cndmask_b32_e32 v0, v8, v0, vcc
	v_cmp_ne_u32_e32 vcc, 0, v0
	v_cndmask_b32_e64 v1, v11, v9, s[0:1]
	v_cndmask_b32_e64 v7, v12, v10, s[0:1]
	v_cndmask_b32_e32 v1, v2, v1, vcc
	v_xor_b32_e32 v2, s12, v6
	v_cndmask_b32_e32 v0, v3, v7, vcc
	v_xor_b32_e32 v1, v1, v2
	v_xor_b32_e32 v0, v0, v2
	v_sub_co_u32_e32 v6, vcc, v1, v2
	v_subb_co_u32_e32 v7, vcc, v0, v2, vcc
.LBB0_3:
	s_andn2_saveexec_b64 s[0:1], s[2:3]
	s_cbranch_execz .LBB0_5
; %bb.4:
	v_cvt_f32_u32_e32 v0, s10
	s_sub_i32 s2, 0, s10
	v_mov_b32_e32 v7, 0
	v_rcp_iflag_f32_e32 v0, v0
	v_mul_f32_e32 v0, 0x4f7ffffe, v0
	v_cvt_u32_f32_e32 v0, v0
	v_mul_lo_u32 v1, s2, v0
	v_mul_hi_u32 v1, v0, v1
	v_add_u32_e32 v0, v0, v1
	v_mul_hi_u32 v0, v4, v0
	v_mul_lo_u32 v1, v0, s10
	v_add_u32_e32 v2, 1, v0
	v_sub_u32_e32 v1, v4, v1
	v_subrev_u32_e32 v3, s10, v1
	v_cmp_le_u32_e32 vcc, s10, v1
	v_cndmask_b32_e32 v1, v1, v3, vcc
	v_cndmask_b32_e32 v0, v0, v2, vcc
	v_add_u32_e32 v2, 1, v0
	v_cmp_le_u32_e32 vcc, s10, v1
	v_cndmask_b32_e32 v6, v0, v2, vcc
.LBB0_5:
	s_or_b64 exec, exec, s[0:1]
	v_or_b32_e32 v1, s15, v7
	v_mov_b32_e32 v0, 0
	v_cmp_ne_u64_e32 vcc, 0, v[0:1]
                                        ; implicit-def: $vgpr0_vgpr1
	s_and_saveexec_b64 s[0:1], vcc
	s_xor_b64 s[12:13], exec, s[0:1]
	s_cbranch_execz .LBB0_7
; %bb.6:
	s_ashr_i32 s0, s15, 31
	s_add_u32 s2, s14, s0
	s_mov_b32 s1, s0
	s_addc_u32 s3, s15, s0
	s_xor_b64 s[16:17], s[2:3], s[0:1]
	v_cvt_f32_u32_e32 v0, s16
	v_cvt_f32_u32_e32 v1, s17
	s_sub_u32 s2, 0, s16
	s_subb_u32 s3, 0, s17
	v_ashrrev_i32_e32 v8, 31, v7
	v_madmk_f32 v0, v1, 0x4f800000, v0
	v_rcp_f32_e32 v0, v0
	v_mul_f32_e32 v0, 0x5f7ffffc, v0
	v_mul_f32_e32 v1, 0x2f800000, v0
	v_trunc_f32_e32 v1, v1
	v_madmk_f32 v0, v1, 0xcf800000, v0
	v_cvt_u32_f32_e32 v1, v1
	v_cvt_u32_f32_e32 v0, v0
	v_readfirstlane_b32 s15, v1
	v_readfirstlane_b32 s0, v0
	s_mul_i32 s1, s2, s15
	s_mul_hi_u32 s19, s2, s0
	s_mul_i32 s18, s3, s0
	s_add_i32 s1, s19, s1
	s_add_i32 s1, s1, s18
	s_mul_i32 s20, s2, s0
	s_mul_i32 s19, s0, s1
	s_mul_hi_u32 s21, s0, s20
	s_mul_hi_u32 s18, s0, s1
	s_add_u32 s19, s21, s19
	s_addc_u32 s18, 0, s18
	s_mul_hi_u32 s22, s15, s20
	s_mul_i32 s20, s15, s20
	s_add_u32 s19, s19, s20
	s_mul_hi_u32 s21, s15, s1
	s_addc_u32 s18, s18, s22
	s_addc_u32 s19, s21, 0
	s_mul_i32 s1, s15, s1
	s_add_u32 s1, s18, s1
	s_addc_u32 s18, 0, s19
	s_add_u32 s19, s0, s1
	s_cselect_b64 s[0:1], -1, 0
	s_cmp_lg_u64 s[0:1], 0
	s_addc_u32 s15, s15, s18
	s_mul_i32 s0, s2, s15
	s_mul_hi_u32 s1, s2, s19
	s_add_i32 s0, s1, s0
	s_mul_i32 s3, s3, s19
	s_add_i32 s0, s0, s3
	s_mul_i32 s2, s2, s19
	s_mul_hi_u32 s3, s15, s2
	s_mul_i32 s18, s15, s2
	s_mul_i32 s21, s19, s0
	s_mul_hi_u32 s2, s19, s2
	s_mul_hi_u32 s20, s19, s0
	s_add_u32 s2, s2, s21
	s_addc_u32 s20, 0, s20
	s_add_u32 s2, s2, s18
	s_mul_hi_u32 s1, s15, s0
	s_addc_u32 s2, s20, s3
	s_addc_u32 s1, s1, 0
	s_mul_i32 s0, s15, s0
	s_add_u32 s0, s2, s0
	s_addc_u32 s2, 0, s1
	s_add_u32 s3, s19, s0
	s_cselect_b64 s[0:1], -1, 0
	s_cmp_lg_u64 s[0:1], 0
	v_add_co_u32_e32 v0, vcc, v6, v8
	s_addc_u32 s2, s15, s2
	v_xor_b32_e32 v9, v0, v8
	v_mad_u64_u32 v[0:1], s[0:1], v9, s2, 0
	v_mul_hi_u32 v3, v9, s3
	v_addc_co_u32_e32 v2, vcc, v7, v8, vcc
	v_xor_b32_e32 v10, v2, v8
	v_add_co_u32_e32 v11, vcc, v3, v0
	v_addc_co_u32_e32 v12, vcc, 0, v1, vcc
	v_mad_u64_u32 v[0:1], s[0:1], v10, s3, 0
	v_mad_u64_u32 v[2:3], s[0:1], v10, s2, 0
	v_add_co_u32_e32 v0, vcc, v11, v0
	v_addc_co_u32_e32 v0, vcc, v12, v1, vcc
	v_addc_co_u32_e32 v1, vcc, 0, v3, vcc
	v_add_co_u32_e32 v0, vcc, v0, v2
	v_addc_co_u32_e32 v1, vcc, 0, v1, vcc
	v_mul_lo_u32 v2, s17, v0
	v_mul_lo_u32 v3, s16, v1
	v_mad_u64_u32 v[0:1], s[0:1], s16, v0, 0
	v_add3_u32 v1, v1, v3, v2
	v_sub_u32_e32 v2, v10, v1
	v_mov_b32_e32 v3, s17
	v_sub_co_u32_e32 v0, vcc, v9, v0
	v_subb_co_u32_e64 v2, s[0:1], v2, v3, vcc
	v_subrev_co_u32_e64 v9, s[0:1], s16, v0
	v_subbrev_co_u32_e64 v11, s[2:3], 0, v2, s[0:1]
	v_cmp_le_u32_e64 s[2:3], s17, v11
	v_cndmask_b32_e64 v12, 0, -1, s[2:3]
	v_cmp_le_u32_e64 s[2:3], s16, v9
	v_subb_co_u32_e64 v2, s[0:1], v2, v3, s[0:1]
	v_cndmask_b32_e64 v13, 0, -1, s[2:3]
	v_cmp_eq_u32_e64 s[2:3], s17, v11
	v_subrev_co_u32_e64 v3, s[0:1], s16, v9
	v_subb_co_u32_e32 v1, vcc, v10, v1, vcc
	v_cndmask_b32_e64 v12, v12, v13, s[2:3]
	v_subbrev_co_u32_e64 v2, s[0:1], 0, v2, s[0:1]
	v_cmp_le_u32_e32 vcc, s17, v1
	v_cmp_ne_u32_e64 s[0:1], 0, v12
	v_cndmask_b32_e64 v10, 0, -1, vcc
	v_cmp_le_u32_e32 vcc, s16, v0
	v_cndmask_b32_e64 v2, v11, v2, s[0:1]
	v_cndmask_b32_e64 v11, 0, -1, vcc
	v_cmp_eq_u32_e32 vcc, s17, v1
	v_cndmask_b32_e32 v10, v10, v11, vcc
	v_cmp_ne_u32_e32 vcc, 0, v10
	v_cndmask_b32_e32 v1, v1, v2, vcc
	v_cndmask_b32_e64 v2, v9, v3, s[0:1]
	v_cndmask_b32_e32 v0, v0, v2, vcc
	v_xor_b32_e32 v0, v0, v8
	v_xor_b32_e32 v1, v1, v8
	v_sub_co_u32_e32 v0, vcc, v0, v8
	v_subb_co_u32_e32 v1, vcc, v1, v8, vcc
.LBB0_7:
	s_andn2_saveexec_b64 s[0:1], s[12:13]
	s_cbranch_execz .LBB0_9
; %bb.8:
	v_cvt_f32_u32_e32 v0, s14
	s_sub_i32 s2, 0, s14
	v_rcp_iflag_f32_e32 v0, v0
	v_mul_f32_e32 v0, 0x4f7ffffe, v0
	v_cvt_u32_f32_e32 v0, v0
	v_mul_lo_u32 v1, s2, v0
	v_mul_hi_u32 v1, v0, v1
	v_add_u32_e32 v0, v0, v1
	v_mul_hi_u32 v0, v6, v0
	v_mul_lo_u32 v0, v0, s14
	v_sub_u32_e32 v0, v6, v0
	v_subrev_u32_e32 v1, s14, v0
	v_cmp_le_u32_e32 vcc, s14, v0
	v_cndmask_b32_e32 v0, v0, v1, vcc
	v_subrev_u32_e32 v1, s14, v0
	v_cmp_le_u32_e32 vcc, s14, v0
	v_cndmask_b32_e32 v0, v0, v1, vcc
	v_mov_b32_e32 v1, 0
.LBB0_9:
	s_or_b64 exec, exec, s[0:1]
	v_or_b32_e32 v3, s9, v5
	v_mov_b32_e32 v2, 0
	v_cmp_ne_u64_e32 vcc, 0, v[2:3]
                                        ; implicit-def: $vgpr2_vgpr3
	s_and_saveexec_b64 s[0:1], vcc
	s_xor_b64 s[2:3], exec, s[0:1]
	s_cbranch_execz .LBB0_11
; %bb.10:
	s_ashr_i32 s12, s9, 31
	s_add_u32 s0, s6, s12
	s_mov_b32 s13, s12
	s_addc_u32 s1, s9, s12
	s_xor_b64 s[14:15], s[0:1], s[12:13]
	v_cvt_f32_u32_e32 v2, s14
	v_cvt_f32_u32_e32 v3, s15
	s_sub_u32 s9, 0, s14
	s_subb_u32 s13, 0, s15
	v_ashrrev_i32_e32 v10, 31, v5
	v_madmk_f32 v2, v3, 0x4f800000, v2
	v_rcp_f32_e32 v2, v2
	v_mul_f32_e32 v2, 0x5f7ffffc, v2
	v_mul_f32_e32 v3, 0x2f800000, v2
	v_trunc_f32_e32 v3, v3
	v_madmk_f32 v2, v3, 0xcf800000, v2
	v_cvt_u32_f32_e32 v3, v3
	v_cvt_u32_f32_e32 v2, v2
	v_readfirstlane_b32 s16, v3
	v_readfirstlane_b32 s0, v2
	s_mul_i32 s1, s9, s16
	s_mul_hi_u32 s18, s9, s0
	s_mul_i32 s17, s13, s0
	s_add_i32 s1, s18, s1
	s_add_i32 s1, s1, s17
	s_mul_i32 s19, s9, s0
	s_mul_i32 s18, s0, s1
	s_mul_hi_u32 s20, s0, s19
	s_mul_hi_u32 s17, s0, s1
	s_add_u32 s18, s20, s18
	s_addc_u32 s17, 0, s17
	s_mul_hi_u32 s21, s16, s19
	s_mul_i32 s19, s16, s19
	s_add_u32 s18, s18, s19
	s_mul_hi_u32 s20, s16, s1
	s_addc_u32 s17, s17, s21
	s_addc_u32 s18, s20, 0
	s_mul_i32 s1, s16, s1
	s_add_u32 s1, s17, s1
	s_addc_u32 s17, 0, s18
	s_add_u32 s18, s0, s1
	s_cselect_b64 s[0:1], -1, 0
	s_cmp_lg_u64 s[0:1], 0
	s_addc_u32 s16, s16, s17
	s_mul_i32 s0, s9, s16
	s_mul_hi_u32 s1, s9, s18
	s_add_i32 s0, s1, s0
	s_mul_i32 s13, s13, s18
	s_add_i32 s0, s0, s13
	s_mul_i32 s9, s9, s18
	s_mul_hi_u32 s13, s16, s9
	s_mul_i32 s17, s16, s9
	s_mul_i32 s20, s18, s0
	s_mul_hi_u32 s9, s18, s9
	s_mul_hi_u32 s19, s18, s0
	s_add_u32 s9, s9, s20
	s_addc_u32 s19, 0, s19
	s_add_u32 s9, s9, s17
	s_mul_hi_u32 s1, s16, s0
	s_addc_u32 s9, s19, s13
	s_addc_u32 s1, s1, 0
	s_mul_i32 s0, s16, s0
	s_add_u32 s0, s9, s0
	s_addc_u32 s9, 0, s1
	s_add_u32 s13, s18, s0
	s_cselect_b64 s[0:1], -1, 0
	s_cmp_lg_u64 s[0:1], 0
	v_add_co_u32_e32 v2, vcc, v4, v10
	s_addc_u32 s9, s16, s9
	v_xor_b32_e32 v11, v2, v10
	v_mad_u64_u32 v[2:3], s[0:1], v11, s9, 0
	v_mul_hi_u32 v9, v11, s13
	v_addc_co_u32_e32 v8, vcc, v5, v10, vcc
	v_xor_b32_e32 v12, v8, v10
	v_add_co_u32_e32 v13, vcc, v9, v2
	v_addc_co_u32_e32 v14, vcc, 0, v3, vcc
	v_mad_u64_u32 v[2:3], s[0:1], v12, s13, 0
	v_mad_u64_u32 v[8:9], s[0:1], v12, s9, 0
	v_add_co_u32_e32 v2, vcc, v13, v2
	v_addc_co_u32_e32 v2, vcc, v14, v3, vcc
	v_addc_co_u32_e32 v3, vcc, 0, v9, vcc
	v_add_co_u32_e32 v8, vcc, v2, v8
	v_addc_co_u32_e32 v9, vcc, 0, v3, vcc
	v_mul_lo_u32 v13, s15, v8
	v_mul_lo_u32 v14, s14, v9
	v_mad_u64_u32 v[2:3], s[0:1], s14, v8, 0
	v_add3_u32 v3, v3, v14, v13
	v_sub_u32_e32 v13, v12, v3
	v_mov_b32_e32 v14, s15
	v_sub_co_u32_e32 v2, vcc, v11, v2
	v_subb_co_u32_e64 v11, s[0:1], v13, v14, vcc
	v_subrev_co_u32_e64 v13, s[0:1], s14, v2
	v_subbrev_co_u32_e64 v11, s[0:1], 0, v11, s[0:1]
	v_cmp_le_u32_e64 s[0:1], s15, v11
	v_cndmask_b32_e64 v14, 0, -1, s[0:1]
	v_cmp_le_u32_e64 s[0:1], s14, v13
	v_cndmask_b32_e64 v13, 0, -1, s[0:1]
	v_cmp_eq_u32_e64 s[0:1], s15, v11
	v_cndmask_b32_e64 v11, v14, v13, s[0:1]
	v_add_co_u32_e64 v13, s[0:1], 2, v8
	v_subb_co_u32_e32 v3, vcc, v12, v3, vcc
	v_addc_co_u32_e64 v14, s[0:1], 0, v9, s[0:1]
	v_cmp_le_u32_e32 vcc, s15, v3
	v_add_co_u32_e64 v15, s[0:1], 1, v8
	v_cndmask_b32_e64 v12, 0, -1, vcc
	v_cmp_le_u32_e32 vcc, s14, v2
	v_addc_co_u32_e64 v16, s[0:1], 0, v9, s[0:1]
	v_cndmask_b32_e64 v2, 0, -1, vcc
	v_cmp_eq_u32_e32 vcc, s15, v3
	v_cmp_ne_u32_e64 s[0:1], 0, v11
	v_cndmask_b32_e32 v2, v12, v2, vcc
	v_cndmask_b32_e64 v11, v16, v14, s[0:1]
	v_cmp_ne_u32_e32 vcc, 0, v2
	v_cndmask_b32_e64 v3, v15, v13, s[0:1]
	v_cndmask_b32_e32 v2, v9, v11, vcc
	v_cndmask_b32_e32 v3, v8, v3, vcc
	v_xor_b32_e32 v8, s12, v10
	v_xor_b32_e32 v9, v2, v8
	;; [unrolled: 1-line block ×3, first 2 shown]
	v_sub_co_u32_e32 v2, vcc, v2, v8
	v_subb_co_u32_e32 v3, vcc, v9, v8, vcc
.LBB0_11:
	s_andn2_saveexec_b64 s[0:1], s[2:3]
	s_cbranch_execz .LBB0_13
; %bb.12:
	v_cvt_f32_u32_e32 v2, s6
	s_sub_i32 s2, 0, s6
	v_rcp_iflag_f32_e32 v2, v2
	v_mul_f32_e32 v2, 0x4f7ffffe, v2
	v_cvt_u32_f32_e32 v2, v2
	v_mul_lo_u32 v3, s2, v2
	v_mul_hi_u32 v3, v2, v3
	v_add_u32_e32 v2, v2, v3
	v_mul_hi_u32 v2, v4, v2
	v_mul_lo_u32 v3, v2, s6
	v_add_u32_e32 v8, 1, v2
	v_sub_u32_e32 v3, v4, v3
	v_subrev_u32_e32 v9, s6, v3
	v_cmp_le_u32_e32 vcc, s6, v3
	v_cndmask_b32_e32 v3, v3, v9, vcc
	v_cndmask_b32_e32 v2, v2, v8, vcc
	v_add_u32_e32 v8, 1, v2
	v_cmp_le_u32_e32 vcc, s6, v3
	v_cndmask_b32_e32 v2, v2, v8, vcc
	v_mov_b32_e32 v3, 0
.LBB0_13:
	s_or_b64 exec, exec, s[0:1]
	s_load_dwordx8 s[12:19], s[4:5], 0xe0
	v_mul_lo_u32 v8, v7, s10
	v_mul_lo_u32 v9, v6, s11
	v_mad_u64_u32 v[6:7], s[0:1], v6, s10, 0
	s_load_dwordx2 s[0:1], s[4:5], 0x100
	s_load_dwordx2 s[2:3], s[4:5], 0xb0
	s_waitcnt lgkmcnt(0)
	s_mul_i32 s6, s13, s8
	s_mul_hi_u32 s9, s12, s8
	s_add_i32 s11, s9, s6
	s_mul_i32 s10, s12, s8
	s_lshl_b64 s[10:11], s[10:11], 3
	s_add_u32 s6, s2, s10
	v_add3_u32 v7, v7, v9, v8
	v_sub_co_u32_e32 v12, vcc, v4, v6
	s_addc_u32 s9, s3, s11
	s_mul_i32 s2, s15, s7
	s_mul_hi_u32 s3, s14, s7
	v_subb_co_u32_e32 v13, vcc, v5, v7, vcc
	s_add_i32 s3, s3, s2
	s_mul_i32 s2, s14, s7
	v_mul_lo_u32 v6, s17, v2
	v_mul_lo_u32 v7, s16, v3
	v_mad_u64_u32 v[4:5], s[10:11], s16, v2, 0
	s_lshl_b64 s[2:3], s[2:3], 3
	s_add_u32 s6, s6, s2
	s_addc_u32 s2, s9, s3
	v_add3_u32 v5, v5, v7, v6
	v_mov_b32_e32 v8, s2
	v_mul_lo_u32 v9, s19, v0
	v_mul_lo_u32 v10, s18, v1
	v_mad_u64_u32 v[6:7], s[2:3], s18, v0, 0
	v_lshlrev_b64 v[4:5], 3, v[4:5]
	v_add_co_u32_e32 v11, vcc, s6, v4
	v_add3_u32 v7, v7, v10, v9
	v_addc_co_u32_e32 v8, vcc, v8, v5, vcc
	v_lshlrev_b64 v[4:5], 3, v[6:7]
	v_mul_lo_u32 v9, s1, v12
	v_mul_lo_u32 v10, s0, v13
	v_mad_u64_u32 v[6:7], s[0:1], s0, v12, 0
	v_add_co_u32_e32 v11, vcc, v11, v4
	v_add3_u32 v7, v7, v10, v9
	v_addc_co_u32_e32 v8, vcc, v8, v5, vcc
	v_lshlrev_b64 v[4:5], 3, v[6:7]
	s_mov_b64 s[0:1], 0
	v_add_co_u32_e32 v4, vcc, v11, v4
	v_addc_co_u32_e32 v5, vcc, v8, v5, vcc
	global_load_dwordx2 v[4:5], v[4:5], off
	s_waitcnt vmcnt(0)
	v_cmp_lt_i64_e32 vcc, -1, v[4:5]
	s_and_saveexec_b64 s[2:3], vcc
	s_xor_b64 s[10:11], exec, s[2:3]
	s_cbranch_execz .LBB0_32
; %bb.14:
	s_load_dwordx4 s[12:15], s[4:5], 0x20
	v_mov_b32_e32 v6, 0
	s_waitcnt lgkmcnt(0)
	s_mul_i32 s0, s12, s15
	s_mul_hi_u32 s1, s12, s14
	s_mul_i32 s2, s13, s14
	s_add_i32 s0, s1, s0
	s_add_i32 s0, s0, s2
	v_or_b32_e32 v7, s0, v5
	v_cmp_ne_u64_e32 vcc, 0, v[6:7]
	s_mul_i32 s6, s12, s14
                                        ; implicit-def: $vgpr6_vgpr7
	s_and_saveexec_b64 s[2:3], vcc
	s_xor_b64 s[2:3], exec, s[2:3]
	s_cbranch_execz .LBB0_16
; %bb.15:
	s_ashr_i32 s16, s0, 31
	s_add_u32 s18, s6, s16
	s_mov_b32 s17, s16
	s_addc_u32 s19, s0, s16
	s_xor_b64 s[18:19], s[18:19], s[16:17]
	v_cvt_f32_u32_e32 v6, s18
	v_cvt_f32_u32_e32 v7, s19
	s_sub_u32 s9, 0, s18
	s_subb_u32 s17, 0, s19
	v_ashrrev_i32_e32 v10, 31, v5
	v_madmk_f32 v6, v7, 0x4f800000, v6
	v_rcp_f32_e32 v6, v6
	v_mul_f32_e32 v6, 0x5f7ffffc, v6
	v_mul_f32_e32 v7, 0x2f800000, v6
	v_trunc_f32_e32 v7, v7
	v_madmk_f32 v6, v7, 0xcf800000, v6
	v_cvt_u32_f32_e32 v7, v7
	v_cvt_u32_f32_e32 v6, v6
	v_readfirstlane_b32 s20, v7
	v_readfirstlane_b32 s0, v6
	s_mul_i32 s1, s9, s20
	s_mul_hi_u32 s22, s9, s0
	s_mul_i32 s21, s17, s0
	s_add_i32 s1, s22, s1
	s_add_i32 s1, s1, s21
	s_mul_i32 s23, s9, s0
	s_mul_i32 s22, s0, s1
	s_mul_hi_u32 s24, s0, s23
	s_mul_hi_u32 s21, s0, s1
	s_add_u32 s22, s24, s22
	s_addc_u32 s21, 0, s21
	s_mul_hi_u32 s25, s20, s23
	s_mul_i32 s23, s20, s23
	s_add_u32 s22, s22, s23
	s_mul_hi_u32 s24, s20, s1
	s_addc_u32 s21, s21, s25
	s_addc_u32 s22, s24, 0
	s_mul_i32 s1, s20, s1
	s_add_u32 s1, s21, s1
	s_addc_u32 s21, 0, s22
	s_add_u32 s22, s0, s1
	s_cselect_b64 s[0:1], -1, 0
	s_cmp_lg_u64 s[0:1], 0
	s_addc_u32 s20, s20, s21
	s_mul_i32 s0, s9, s20
	s_mul_hi_u32 s1, s9, s22
	s_add_i32 s0, s1, s0
	s_mul_i32 s17, s17, s22
	s_add_i32 s0, s0, s17
	s_mul_i32 s9, s9, s22
	s_mul_hi_u32 s17, s20, s9
	s_mul_i32 s21, s20, s9
	s_mul_i32 s24, s22, s0
	s_mul_hi_u32 s9, s22, s9
	s_mul_hi_u32 s23, s22, s0
	s_add_u32 s9, s9, s24
	s_addc_u32 s23, 0, s23
	s_add_u32 s9, s9, s21
	s_mul_hi_u32 s1, s20, s0
	s_addc_u32 s9, s23, s17
	s_addc_u32 s1, s1, 0
	s_mul_i32 s0, s20, s0
	s_add_u32 s0, s9, s0
	s_addc_u32 s9, 0, s1
	s_add_u32 s17, s22, s0
	s_cselect_b64 s[0:1], -1, 0
	s_cmp_lg_u64 s[0:1], 0
	v_add_co_u32_e32 v6, vcc, v4, v10
	s_addc_u32 s9, s20, s9
	v_xor_b32_e32 v11, v6, v10
	v_mad_u64_u32 v[6:7], s[0:1], v11, s9, 0
	v_mul_hi_u32 v9, v11, s17
	v_addc_co_u32_e32 v8, vcc, v5, v10, vcc
	v_xor_b32_e32 v14, v8, v10
	v_add_co_u32_e32 v15, vcc, v9, v6
	v_addc_co_u32_e32 v16, vcc, 0, v7, vcc
	v_mad_u64_u32 v[6:7], s[0:1], v14, s17, 0
	v_mad_u64_u32 v[8:9], s[0:1], v14, s9, 0
	v_add_co_u32_e32 v6, vcc, v15, v6
	v_addc_co_u32_e32 v6, vcc, v16, v7, vcc
	v_addc_co_u32_e32 v7, vcc, 0, v9, vcc
	v_add_co_u32_e32 v8, vcc, v6, v8
	v_addc_co_u32_e32 v9, vcc, 0, v7, vcc
	v_mul_lo_u32 v15, s19, v8
	v_mul_lo_u32 v16, s18, v9
	v_mad_u64_u32 v[6:7], s[0:1], s18, v8, 0
	v_add3_u32 v7, v7, v16, v15
	v_sub_u32_e32 v15, v14, v7
	v_mov_b32_e32 v16, s19
	v_sub_co_u32_e32 v6, vcc, v11, v6
	v_subb_co_u32_e64 v11, s[0:1], v15, v16, vcc
	v_subrev_co_u32_e64 v15, s[0:1], s18, v6
	v_subbrev_co_u32_e64 v11, s[0:1], 0, v11, s[0:1]
	v_cmp_le_u32_e64 s[0:1], s19, v11
	v_cndmask_b32_e64 v16, 0, -1, s[0:1]
	v_cmp_le_u32_e64 s[0:1], s18, v15
	v_cndmask_b32_e64 v15, 0, -1, s[0:1]
	v_cmp_eq_u32_e64 s[0:1], s19, v11
	v_cndmask_b32_e64 v11, v16, v15, s[0:1]
	v_add_co_u32_e64 v15, s[0:1], 2, v8
	v_subb_co_u32_e32 v7, vcc, v14, v7, vcc
	v_addc_co_u32_e64 v16, s[0:1], 0, v9, s[0:1]
	v_cmp_le_u32_e32 vcc, s19, v7
	v_add_co_u32_e64 v17, s[0:1], 1, v8
	v_cndmask_b32_e64 v14, 0, -1, vcc
	v_cmp_le_u32_e32 vcc, s18, v6
	v_addc_co_u32_e64 v18, s[0:1], 0, v9, s[0:1]
	v_cndmask_b32_e64 v6, 0, -1, vcc
	v_cmp_eq_u32_e32 vcc, s19, v7
	v_cmp_ne_u32_e64 s[0:1], 0, v11
	v_cndmask_b32_e32 v6, v14, v6, vcc
	v_cndmask_b32_e64 v11, v18, v16, s[0:1]
	v_cmp_ne_u32_e32 vcc, 0, v6
	v_cndmask_b32_e64 v7, v17, v15, s[0:1]
	v_cndmask_b32_e32 v6, v9, v11, vcc
	v_cndmask_b32_e32 v7, v8, v7, vcc
	v_xor_b32_e32 v8, s16, v10
	v_xor_b32_e32 v9, v6, v8
	v_xor_b32_e32 v6, v7, v8
	v_sub_co_u32_e32 v6, vcc, v6, v8
	v_subb_co_u32_e32 v7, vcc, v9, v8, vcc
.LBB0_16:
	s_andn2_saveexec_b64 s[0:1], s[2:3]
	s_cbranch_execz .LBB0_18
; %bb.17:
	v_cvt_f32_u32_e32 v6, s6
	s_sub_i32 s2, 0, s6
	v_rcp_iflag_f32_e32 v6, v6
	v_mul_f32_e32 v6, 0x4f7ffffe, v6
	v_cvt_u32_f32_e32 v6, v6
	v_mul_lo_u32 v7, s2, v6
	v_mul_hi_u32 v7, v6, v7
	v_add_u32_e32 v6, v6, v7
	v_mul_hi_u32 v6, v4, v6
	v_mul_lo_u32 v7, v6, s6
	v_add_u32_e32 v8, 1, v6
	v_sub_u32_e32 v7, v4, v7
	v_subrev_u32_e32 v9, s6, v7
	v_cmp_le_u32_e32 vcc, s6, v7
	v_cndmask_b32_e32 v7, v7, v9, vcc
	v_cndmask_b32_e32 v6, v6, v8, vcc
	v_add_u32_e32 v8, 1, v6
	v_cmp_le_u32_e32 vcc, s6, v7
	v_cndmask_b32_e32 v6, v6, v8, vcc
	v_mov_b32_e32 v7, 0
.LBB0_18:
	s_or_b64 exec, exec, s[0:1]
	s_load_dwordx2 s[0:1], s[4:5], 0x18
	s_mov_b64 s[16:17], 0
	s_waitcnt lgkmcnt(0)
	v_cmp_le_i64_e32 vcc, s[0:1], v[6:7]
	s_and_saveexec_b64 s[0:1], vcc
	s_xor_b64 s[0:1], exec, s[0:1]
	s_cbranch_execnz .LBB0_37
; %bb.19:
	s_andn2_saveexec_b64 s[18:19], s[0:1]
	s_cbranch_execz .LBB0_31
.LBB0_20:
	v_or_b32_e32 v9, s15, v5
	v_mov_b32_e32 v8, 0
	v_cmp_ne_u64_e32 vcc, 0, v[8:9]
                                        ; implicit-def: $vgpr8_vgpr9
	s_and_saveexec_b64 s[0:1], vcc
	s_xor_b64 s[2:3], exec, s[0:1]
	s_cbranch_execz .LBB0_22
; %bb.21:
	s_ashr_i32 s20, s15, 31
	s_add_u32 s0, s14, s20
	s_mov_b32 s21, s20
	s_addc_u32 s1, s15, s20
	s_xor_b64 s[22:23], s[0:1], s[20:21]
	v_cvt_f32_u32_e32 v8, s22
	v_cvt_f32_u32_e32 v9, s23
	s_sub_u32 s6, 0, s22
	s_subb_u32 s9, 0, s23
	v_ashrrev_i32_e32 v14, 31, v5
	v_madmk_f32 v8, v9, 0x4f800000, v8
	v_rcp_f32_e32 v8, v8
	v_mul_f32_e32 v8, 0x5f7ffffc, v8
	v_mul_f32_e32 v9, 0x2f800000, v8
	v_trunc_f32_e32 v9, v9
	v_madmk_f32 v8, v9, 0xcf800000, v8
	v_cvt_u32_f32_e32 v9, v9
	v_cvt_u32_f32_e32 v8, v8
	v_readfirstlane_b32 s21, v9
	v_readfirstlane_b32 s0, v8
	s_mul_i32 s1, s6, s21
	s_mul_hi_u32 s25, s6, s0
	s_mul_i32 s24, s9, s0
	s_add_i32 s1, s25, s1
	s_add_i32 s1, s1, s24
	s_mul_i32 s26, s6, s0
	s_mul_i32 s25, s0, s1
	s_mul_hi_u32 s27, s0, s26
	s_mul_hi_u32 s24, s0, s1
	s_add_u32 s25, s27, s25
	s_addc_u32 s24, 0, s24
	s_mul_hi_u32 s28, s21, s26
	s_mul_i32 s26, s21, s26
	s_add_u32 s25, s25, s26
	s_mul_hi_u32 s27, s21, s1
	s_addc_u32 s24, s24, s28
	s_addc_u32 s25, s27, 0
	s_mul_i32 s1, s21, s1
	s_add_u32 s1, s24, s1
	s_addc_u32 s24, 0, s25
	s_add_u32 s25, s0, s1
	s_cselect_b64 s[0:1], -1, 0
	s_cmp_lg_u64 s[0:1], 0
	s_addc_u32 s21, s21, s24
	s_mul_i32 s0, s6, s21
	s_mul_hi_u32 s1, s6, s25
	s_add_i32 s0, s1, s0
	s_mul_i32 s9, s9, s25
	s_add_i32 s0, s0, s9
	s_mul_i32 s6, s6, s25
	s_mul_hi_u32 s9, s21, s6
	s_mul_i32 s24, s21, s6
	s_mul_i32 s27, s25, s0
	s_mul_hi_u32 s6, s25, s6
	s_mul_hi_u32 s26, s25, s0
	s_add_u32 s6, s6, s27
	s_addc_u32 s26, 0, s26
	s_add_u32 s6, s6, s24
	s_mul_hi_u32 s1, s21, s0
	s_addc_u32 s6, s26, s9
	s_addc_u32 s1, s1, 0
	s_mul_i32 s0, s21, s0
	s_add_u32 s0, s6, s0
	s_addc_u32 s6, 0, s1
	s_add_u32 s9, s25, s0
	s_cselect_b64 s[0:1], -1, 0
	s_cmp_lg_u64 s[0:1], 0
	v_add_co_u32_e32 v8, vcc, v4, v14
	s_addc_u32 s6, s21, s6
	v_xor_b32_e32 v15, v8, v14
	v_mad_u64_u32 v[8:9], s[0:1], v15, s6, 0
	v_mul_hi_u32 v11, v15, s9
	v_addc_co_u32_e32 v10, vcc, v5, v14, vcc
	v_xor_b32_e32 v16, v10, v14
	v_add_co_u32_e32 v17, vcc, v11, v8
	v_addc_co_u32_e32 v18, vcc, 0, v9, vcc
	v_mad_u64_u32 v[8:9], s[0:1], v16, s9, 0
	v_mad_u64_u32 v[10:11], s[0:1], v16, s6, 0
	v_add_co_u32_e32 v8, vcc, v17, v8
	v_addc_co_u32_e32 v8, vcc, v18, v9, vcc
	v_addc_co_u32_e32 v9, vcc, 0, v11, vcc
	v_add_co_u32_e32 v10, vcc, v8, v10
	v_addc_co_u32_e32 v11, vcc, 0, v9, vcc
	v_mul_lo_u32 v17, s23, v10
	v_mul_lo_u32 v18, s22, v11
	v_mad_u64_u32 v[8:9], s[0:1], s22, v10, 0
	v_add3_u32 v9, v9, v18, v17
	v_sub_u32_e32 v17, v16, v9
	v_mov_b32_e32 v18, s23
	v_sub_co_u32_e32 v8, vcc, v15, v8
	v_subb_co_u32_e64 v15, s[0:1], v17, v18, vcc
	v_subrev_co_u32_e64 v17, s[0:1], s22, v8
	v_subbrev_co_u32_e64 v15, s[0:1], 0, v15, s[0:1]
	v_cmp_le_u32_e64 s[0:1], s23, v15
	v_cndmask_b32_e64 v18, 0, -1, s[0:1]
	v_cmp_le_u32_e64 s[0:1], s22, v17
	v_cndmask_b32_e64 v17, 0, -1, s[0:1]
	v_cmp_eq_u32_e64 s[0:1], s23, v15
	v_cndmask_b32_e64 v15, v18, v17, s[0:1]
	v_add_co_u32_e64 v17, s[0:1], 2, v10
	v_subb_co_u32_e32 v9, vcc, v16, v9, vcc
	v_addc_co_u32_e64 v18, s[0:1], 0, v11, s[0:1]
	v_cmp_le_u32_e32 vcc, s23, v9
	v_add_co_u32_e64 v19, s[0:1], 1, v10
	v_cndmask_b32_e64 v16, 0, -1, vcc
	v_cmp_le_u32_e32 vcc, s22, v8
	v_addc_co_u32_e64 v20, s[0:1], 0, v11, s[0:1]
	v_cndmask_b32_e64 v8, 0, -1, vcc
	v_cmp_eq_u32_e32 vcc, s23, v9
	v_cmp_ne_u32_e64 s[0:1], 0, v15
	v_cndmask_b32_e32 v8, v16, v8, vcc
	v_cndmask_b32_e64 v15, v20, v18, s[0:1]
	v_cmp_ne_u32_e32 vcc, 0, v8
	v_cndmask_b32_e64 v9, v19, v17, s[0:1]
	v_cndmask_b32_e32 v8, v11, v15, vcc
	v_cndmask_b32_e32 v9, v10, v9, vcc
	v_xor_b32_e32 v10, s20, v14
	v_xor_b32_e32 v11, v8, v10
	;; [unrolled: 1-line block ×3, first 2 shown]
	v_sub_co_u32_e32 v8, vcc, v8, v10
	v_subb_co_u32_e32 v9, vcc, v11, v10, vcc
.LBB0_22:
	s_andn2_saveexec_b64 s[0:1], s[2:3]
	s_cbranch_execz .LBB0_24
; %bb.23:
	v_cvt_f32_u32_e32 v8, s14
	s_sub_i32 s2, 0, s14
	v_rcp_iflag_f32_e32 v8, v8
	v_mul_f32_e32 v8, 0x4f7ffffe, v8
	v_cvt_u32_f32_e32 v8, v8
	v_mul_lo_u32 v9, s2, v8
	v_mul_hi_u32 v9, v8, v9
	v_add_u32_e32 v8, v8, v9
	v_mul_hi_u32 v8, v4, v8
	v_mul_lo_u32 v9, v8, s14
	v_add_u32_e32 v10, 1, v8
	v_sub_u32_e32 v9, v4, v9
	v_subrev_u32_e32 v11, s14, v9
	v_cmp_le_u32_e32 vcc, s14, v9
	v_cndmask_b32_e32 v9, v9, v11, vcc
	v_cndmask_b32_e32 v8, v8, v10, vcc
	v_add_u32_e32 v10, 1, v8
	v_cmp_le_u32_e32 vcc, s14, v9
	v_cndmask_b32_e32 v8, v8, v10, vcc
	v_mov_b32_e32 v9, 0
.LBB0_24:
	s_or_b64 exec, exec, s[0:1]
	v_or_b32_e32 v11, s13, v9
	v_mov_b32_e32 v10, 0
	v_cmp_ne_u64_e32 vcc, 0, v[10:11]
                                        ; implicit-def: $vgpr10_vgpr11
	s_and_saveexec_b64 s[0:1], vcc
	s_xor_b64 s[20:21], exec, s[0:1]
	s_cbranch_execz .LBB0_26
; %bb.25:
	s_ashr_i32 s0, s13, 31
	s_add_u32 s2, s12, s0
	s_mov_b32 s1, s0
	s_addc_u32 s3, s13, s0
	s_xor_b64 s[22:23], s[2:3], s[0:1]
	v_cvt_f32_u32_e32 v10, s22
	v_cvt_f32_u32_e32 v11, s23
	s_sub_u32 s2, 0, s22
	s_subb_u32 s3, 0, s23
	v_ashrrev_i32_e32 v16, 31, v9
	v_madmk_f32 v10, v11, 0x4f800000, v10
	v_rcp_f32_e32 v10, v10
	v_mul_f32_e32 v10, 0x5f7ffffc, v10
	v_mul_f32_e32 v11, 0x2f800000, v10
	v_trunc_f32_e32 v11, v11
	v_madmk_f32 v10, v11, 0xcf800000, v10
	v_cvt_u32_f32_e32 v11, v11
	v_cvt_u32_f32_e32 v10, v10
	v_readfirstlane_b32 s6, v11
	v_readfirstlane_b32 s0, v10
	s_mul_i32 s1, s2, s6
	s_mul_hi_u32 s13, s2, s0
	s_mul_i32 s9, s3, s0
	s_add_i32 s1, s13, s1
	s_add_i32 s1, s1, s9
	s_mul_i32 s24, s2, s0
	s_mul_i32 s13, s0, s1
	s_mul_hi_u32 s25, s0, s24
	s_mul_hi_u32 s9, s0, s1
	s_add_u32 s13, s25, s13
	s_addc_u32 s9, 0, s9
	s_mul_hi_u32 s26, s6, s24
	s_mul_i32 s24, s6, s24
	s_add_u32 s13, s13, s24
	s_mul_hi_u32 s25, s6, s1
	s_addc_u32 s9, s9, s26
	s_addc_u32 s13, s25, 0
	s_mul_i32 s1, s6, s1
	s_add_u32 s1, s9, s1
	s_addc_u32 s9, 0, s13
	s_add_u32 s13, s0, s1
	s_cselect_b64 s[0:1], -1, 0
	s_cmp_lg_u64 s[0:1], 0
	s_addc_u32 s6, s6, s9
	s_mul_i32 s0, s2, s6
	s_mul_hi_u32 s1, s2, s13
	s_add_i32 s0, s1, s0
	s_mul_i32 s3, s3, s13
	s_add_i32 s0, s0, s3
	s_mul_i32 s2, s2, s13
	s_mul_hi_u32 s3, s6, s2
	s_mul_i32 s9, s6, s2
	s_mul_i32 s25, s13, s0
	s_mul_hi_u32 s2, s13, s2
	s_mul_hi_u32 s24, s13, s0
	s_add_u32 s2, s2, s25
	s_addc_u32 s24, 0, s24
	s_add_u32 s2, s2, s9
	s_mul_hi_u32 s1, s6, s0
	s_addc_u32 s2, s24, s3
	s_addc_u32 s1, s1, 0
	s_mul_i32 s0, s6, s0
	s_add_u32 s0, s2, s0
	s_addc_u32 s2, 0, s1
	s_add_u32 s3, s13, s0
	s_cselect_b64 s[0:1], -1, 0
	s_cmp_lg_u64 s[0:1], 0
	v_add_co_u32_e32 v10, vcc, v8, v16
	s_addc_u32 s2, s6, s2
	v_xor_b32_e32 v17, v10, v16
	v_mad_u64_u32 v[10:11], s[0:1], v17, s2, 0
	v_mul_hi_u32 v15, v17, s3
	v_addc_co_u32_e32 v14, vcc, v9, v16, vcc
	v_xor_b32_e32 v18, v14, v16
	v_add_co_u32_e32 v19, vcc, v15, v10
	v_addc_co_u32_e32 v20, vcc, 0, v11, vcc
	v_mad_u64_u32 v[10:11], s[0:1], v18, s3, 0
	v_mad_u64_u32 v[14:15], s[0:1], v18, s2, 0
	v_add_co_u32_e32 v10, vcc, v19, v10
	v_addc_co_u32_e32 v10, vcc, v20, v11, vcc
	v_addc_co_u32_e32 v11, vcc, 0, v15, vcc
	v_add_co_u32_e32 v10, vcc, v10, v14
	v_addc_co_u32_e32 v11, vcc, 0, v11, vcc
	v_mul_lo_u32 v14, s23, v10
	v_mul_lo_u32 v15, s22, v11
	v_mad_u64_u32 v[10:11], s[0:1], s22, v10, 0
	v_add3_u32 v11, v11, v15, v14
	v_sub_u32_e32 v14, v18, v11
	v_mov_b32_e32 v15, s23
	v_sub_co_u32_e32 v10, vcc, v17, v10
	v_subb_co_u32_e64 v14, s[0:1], v14, v15, vcc
	v_subrev_co_u32_e64 v17, s[0:1], s22, v10
	v_subbrev_co_u32_e64 v19, s[2:3], 0, v14, s[0:1]
	v_cmp_le_u32_e64 s[2:3], s23, v19
	v_cndmask_b32_e64 v20, 0, -1, s[2:3]
	v_cmp_le_u32_e64 s[2:3], s22, v17
	v_subb_co_u32_e64 v14, s[0:1], v14, v15, s[0:1]
	v_cndmask_b32_e64 v21, 0, -1, s[2:3]
	v_cmp_eq_u32_e64 s[2:3], s23, v19
	v_subrev_co_u32_e64 v15, s[0:1], s22, v17
	v_subb_co_u32_e32 v11, vcc, v18, v11, vcc
	v_cndmask_b32_e64 v20, v20, v21, s[2:3]
	v_subbrev_co_u32_e64 v14, s[0:1], 0, v14, s[0:1]
	v_cmp_le_u32_e32 vcc, s23, v11
	v_cmp_ne_u32_e64 s[0:1], 0, v20
	v_cndmask_b32_e64 v18, 0, -1, vcc
	v_cmp_le_u32_e32 vcc, s22, v10
	v_cndmask_b32_e64 v14, v19, v14, s[0:1]
	v_cndmask_b32_e64 v19, 0, -1, vcc
	v_cmp_eq_u32_e32 vcc, s23, v11
	v_cndmask_b32_e32 v18, v18, v19, vcc
	v_cmp_ne_u32_e32 vcc, 0, v18
	v_cndmask_b32_e32 v11, v11, v14, vcc
	v_cndmask_b32_e64 v14, v17, v15, s[0:1]
	v_cndmask_b32_e32 v10, v10, v14, vcc
	v_xor_b32_e32 v10, v10, v16
	v_xor_b32_e32 v11, v11, v16
	v_sub_co_u32_e32 v10, vcc, v10, v16
	v_subb_co_u32_e32 v11, vcc, v11, v16, vcc
.LBB0_26:
	s_andn2_saveexec_b64 s[0:1], s[20:21]
	s_cbranch_execz .LBB0_28
; %bb.27:
	v_cvt_f32_u32_e32 v10, s12
	s_sub_i32 s2, 0, s12
	v_rcp_iflag_f32_e32 v10, v10
	v_mul_f32_e32 v10, 0x4f7ffffe, v10
	v_cvt_u32_f32_e32 v10, v10
	v_mul_lo_u32 v11, s2, v10
	v_mul_hi_u32 v11, v10, v11
	v_add_u32_e32 v10, v10, v11
	v_mul_hi_u32 v10, v8, v10
	v_mul_lo_u32 v10, v10, s12
	v_sub_u32_e32 v10, v8, v10
	v_subrev_u32_e32 v11, s12, v10
	v_cmp_le_u32_e32 vcc, s12, v10
	v_cndmask_b32_e32 v10, v10, v11, vcc
	v_subrev_u32_e32 v11, s12, v10
	v_cmp_le_u32_e32 vcc, s12, v10
	v_cndmask_b32_e32 v10, v10, v11, vcc
	v_mov_b32_e32 v11, 0
.LBB0_28:
	s_or_b64 exec, exec, s[0:1]
	s_load_dwordx8 s[20:27], s[4:5], 0x30
	v_mul_lo_u32 v14, v9, s14
	v_mul_lo_u32 v15, v8, s15
	v_mad_u64_u32 v[8:9], s[0:1], v8, s14, 0
	s_load_dwordx4 s[0:3], s[4:5], 0x50
	s_load_dwordx2 s[12:13], s[4:5], 0x0
	s_waitcnt lgkmcnt(0)
	s_mul_i32 s6, s21, s8
	s_mul_hi_u32 s9, s20, s8
	s_add_i32 s15, s9, s6
	s_mul_i32 s14, s20, s8
	s_lshl_b64 s[14:15], s[14:15], 3
	v_add3_u32 v9, v9, v15, v14
	v_sub_co_u32_e32 v8, vcc, v4, v8
	s_add_u32 s6, s12, s14
	v_subb_co_u32_e32 v9, vcc, v5, v9, vcc
	s_addc_u32 s9, s13, s15
	s_mul_i32 s12, s23, s7
	s_mul_hi_u32 s13, s22, s7
	v_mul_lo_u32 v14, s25, v6
	v_mul_lo_u32 v7, s24, v7
	v_mad_u64_u32 v[4:5], s[14:15], s24, v6, 0
	s_add_i32 s13, s13, s12
	s_mul_i32 s12, s22, s7
	s_lshl_b64 s[12:13], s[12:13], 3
	s_add_u32 s6, s6, s12
	s_addc_u32 s9, s9, s13
	v_add3_u32 v5, v5, v7, v14
	v_mul_lo_u32 v15, s27, v10
	v_mul_lo_u32 v11, s26, v11
	v_mad_u64_u32 v[6:7], s[12:13], s26, v10, 0
	s_load_dwordx8 s[20:27], s[4:5], 0x88
	v_lshlrev_b64 v[4:5], 3, v[4:5]
	v_mov_b32_e32 v14, s9
	v_add_co_u32_e32 v10, vcc, s6, v4
	v_add3_u32 v7, v7, v11, v15
	v_addc_co_u32_e32 v14, vcc, v14, v5, vcc
	v_lshlrev_b64 v[4:5], 3, v[6:7]
	v_mul_lo_u32 v11, s1, v8
	v_mul_lo_u32 v9, s0, v9
	v_mad_u64_u32 v[6:7], s[0:1], s0, v8, 0
	s_load_dwordx2 s[0:1], s[4:5], 0xa8
	s_waitcnt lgkmcnt(0)
	s_mul_i32 s4, s21, s8
	s_mul_hi_u32 s5, s20, s8
	s_add_i32 s5, s5, s4
	s_mul_i32 s4, s20, s8
	s_lshl_b64 s[4:5], s[4:5], 3
	s_add_u32 s6, s2, s4
	v_add_co_u32_e32 v8, vcc, v10, v4
	v_add3_u32 v7, v7, v9, v11
	s_addc_u32 s8, s3, s5
	s_mul_i32 s2, s23, s7
	s_mul_hi_u32 s3, s22, s7
	v_addc_co_u32_e32 v10, vcc, v14, v5, vcc
	v_lshlrev_b64 v[4:5], 3, v[6:7]
	s_add_i32 s3, s3, s2
	s_mul_i32 s2, s22, s7
	v_mul_lo_u32 v6, s25, v2
	v_mul_lo_u32 v7, s24, v3
	v_mad_u64_u32 v[2:3], s[4:5], s24, v2, 0
	s_lshl_b64 s[2:3], s[2:3], 3
	s_add_u32 s4, s6, s2
	s_addc_u32 s2, s8, s3
	v_add_co_u32_e32 v4, vcc, v8, v4
	v_add3_u32 v3, v3, v7, v6
	v_mov_b32_e32 v6, s2
	v_mul_lo_u32 v7, s27, v0
	v_mul_lo_u32 v8, s26, v1
	v_mad_u64_u32 v[0:1], s[2:3], s26, v0, 0
	v_lshlrev_b64 v[2:3], 3, v[2:3]
	v_addc_co_u32_e32 v5, vcc, v10, v5, vcc
	v_add_co_u32_e32 v9, vcc, s4, v2
	v_addc_co_u32_e32 v6, vcc, v6, v3, vcc
	v_add3_u32 v1, v1, v8, v7
	v_mul_lo_u32 v7, s1, v12
	v_mul_lo_u32 v8, s0, v13
	v_mad_u64_u32 v[2:3], s[0:1], s0, v12, 0
	v_lshlrev_b64 v[0:1], 3, v[0:1]
	s_mov_b64 s[0:1], 0
	v_add_co_u32_e32 v9, vcc, v9, v0
	v_add3_u32 v3, v3, v8, v7
	v_addc_co_u32_e32 v6, vcc, v6, v1, vcc
	v_lshlrev_b64 v[0:1], 3, v[2:3]
	v_add_co_u32_e32 v0, vcc, v9, v0
	v_addc_co_u32_e32 v1, vcc, v6, v1, vcc
	global_load_dwordx2 v[6:7], v[0:1], off
	global_load_dwordx2 v[2:3], v[4:5], off
.LBB0_29:                               ; =>This Inner Loop Header: Depth=1
	s_waitcnt vmcnt(0)
	v_add_f64 v[0:1], v[2:3], v[6:7]
	global_atomic_cmpswap_x2 v[0:1], v[4:5], v[0:3], off glc
	s_waitcnt vmcnt(0)
	v_cmp_eq_u64_e32 vcc, v[0:1], v[2:3]
	v_mov_b32_e32 v3, v1
	s_or_b64 s[0:1], vcc, s[0:1]
	v_mov_b32_e32 v2, v0
	s_andn2_b64 exec, exec, s[0:1]
	s_cbranch_execnz .LBB0_29
; %bb.30:
	s_or_b64 exec, exec, s[0:1]
.LBB0_31:
	s_or_b64 exec, exec, s[18:19]
	s_and_b64 s[0:1], s[16:17], exec
.LBB0_32:
	s_andn2_saveexec_b64 s[2:3], s[10:11]
	s_cbranch_execnz .LBB0_36
; %bb.33:
	s_or_b64 exec, exec, s[2:3]
	s_and_b64 exec, exec, s[0:1]
.LBB0_34:
	; divergent unreachable
.LBB0_35:
	s_endpgm
.LBB0_36:
	s_or_b64 s[0:1], s[0:1], exec
	s_trap 2
	s_or_b64 exec, exec, s[2:3]
	s_and_b64 exec, exec, s[0:1]
	s_cbranch_execnz .LBB0_34
	s_branch .LBB0_35
.LBB0_37:
	s_mov_b64 s[16:17], exec
	s_trap 2
                                        ; implicit-def: $vgpr4_vgpr5
                                        ; implicit-def: $vgpr6_vgpr7
                                        ; implicit-def: $vgpr2_vgpr3
                                        ; implicit-def: $vgpr0_vgpr1
                                        ; implicit-def: $vgpr12
                                        ; implicit-def: $vgpr13
	s_andn2_saveexec_b64 s[18:19], s[0:1]
	s_cbranch_execnz .LBB0_20
	s_branch .LBB0_31
	.section	.rodata,"a",@progbits
	.p2align	6, 0x0
	.amdhsa_kernel _ZN2at6native12_GLOBAL__N_140fractional_max_pool3d_backward_out_frameIdEEvN5torch10headeronly6detail27GenericPackedTensorAccessorINS5_14TensorAccessorIN3c108ArrayRefIlEET_Lm4ENS4_16DefaultPtrTraitsElEENS_6detail16IndexBoundsCheckILm5ElEESB_Lm5ESC_lEENS6_INS7_ISA_KSB_Lm4ESC_lEESG_SI_Lm5ESC_lEENS6_INS7_ISA_KlLm4ESC_lEESG_SL_Lm5ESC_lEE
		.amdhsa_group_segment_fixed_size 0
		.amdhsa_private_segment_fixed_size 0
		.amdhsa_kernarg_size 520
		.amdhsa_user_sgpr_count 6
		.amdhsa_user_sgpr_private_segment_buffer 1
		.amdhsa_user_sgpr_dispatch_ptr 0
		.amdhsa_user_sgpr_queue_ptr 0
		.amdhsa_user_sgpr_kernarg_segment_ptr 1
		.amdhsa_user_sgpr_dispatch_id 0
		.amdhsa_user_sgpr_flat_scratch_init 0
		.amdhsa_user_sgpr_private_segment_size 0
		.amdhsa_uses_dynamic_stack 0
		.amdhsa_system_sgpr_private_segment_wavefront_offset 0
		.amdhsa_system_sgpr_workgroup_id_x 1
		.amdhsa_system_sgpr_workgroup_id_y 1
		.amdhsa_system_sgpr_workgroup_id_z 1
		.amdhsa_system_sgpr_workgroup_info 0
		.amdhsa_system_vgpr_workitem_id 0
		.amdhsa_next_free_vgpr 22
		.amdhsa_next_free_sgpr 29
		.amdhsa_reserve_vcc 1
		.amdhsa_reserve_flat_scratch 0
		.amdhsa_float_round_mode_32 0
		.amdhsa_float_round_mode_16_64 0
		.amdhsa_float_denorm_mode_32 3
		.amdhsa_float_denorm_mode_16_64 3
		.amdhsa_dx10_clamp 1
		.amdhsa_ieee_mode 1
		.amdhsa_fp16_overflow 0
		.amdhsa_exception_fp_ieee_invalid_op 0
		.amdhsa_exception_fp_denorm_src 0
		.amdhsa_exception_fp_ieee_div_zero 0
		.amdhsa_exception_fp_ieee_overflow 0
		.amdhsa_exception_fp_ieee_underflow 0
		.amdhsa_exception_fp_ieee_inexact 0
		.amdhsa_exception_int_div_zero 0
	.end_amdhsa_kernel
	.section	.text._ZN2at6native12_GLOBAL__N_140fractional_max_pool3d_backward_out_frameIdEEvN5torch10headeronly6detail27GenericPackedTensorAccessorINS5_14TensorAccessorIN3c108ArrayRefIlEET_Lm4ENS4_16DefaultPtrTraitsElEENS_6detail16IndexBoundsCheckILm5ElEESB_Lm5ESC_lEENS6_INS7_ISA_KSB_Lm4ESC_lEESG_SI_Lm5ESC_lEENS6_INS7_ISA_KlLm4ESC_lEESG_SL_Lm5ESC_lEE,"axG",@progbits,_ZN2at6native12_GLOBAL__N_140fractional_max_pool3d_backward_out_frameIdEEvN5torch10headeronly6detail27GenericPackedTensorAccessorINS5_14TensorAccessorIN3c108ArrayRefIlEET_Lm4ENS4_16DefaultPtrTraitsElEENS_6detail16IndexBoundsCheckILm5ElEESB_Lm5ESC_lEENS6_INS7_ISA_KSB_Lm4ESC_lEESG_SI_Lm5ESC_lEENS6_INS7_ISA_KlLm4ESC_lEESG_SL_Lm5ESC_lEE,comdat
.Lfunc_end0:
	.size	_ZN2at6native12_GLOBAL__N_140fractional_max_pool3d_backward_out_frameIdEEvN5torch10headeronly6detail27GenericPackedTensorAccessorINS5_14TensorAccessorIN3c108ArrayRefIlEET_Lm4ENS4_16DefaultPtrTraitsElEENS_6detail16IndexBoundsCheckILm5ElEESB_Lm5ESC_lEENS6_INS7_ISA_KSB_Lm4ESC_lEESG_SI_Lm5ESC_lEENS6_INS7_ISA_KlLm4ESC_lEESG_SL_Lm5ESC_lEE, .Lfunc_end0-_ZN2at6native12_GLOBAL__N_140fractional_max_pool3d_backward_out_frameIdEEvN5torch10headeronly6detail27GenericPackedTensorAccessorINS5_14TensorAccessorIN3c108ArrayRefIlEET_Lm4ENS4_16DefaultPtrTraitsElEENS_6detail16IndexBoundsCheckILm5ElEESB_Lm5ESC_lEENS6_INS7_ISA_KSB_Lm4ESC_lEESG_SI_Lm5ESC_lEENS6_INS7_ISA_KlLm4ESC_lEESG_SL_Lm5ESC_lEE
                                        ; -- End function
	.set _ZN2at6native12_GLOBAL__N_140fractional_max_pool3d_backward_out_frameIdEEvN5torch10headeronly6detail27GenericPackedTensorAccessorINS5_14TensorAccessorIN3c108ArrayRefIlEET_Lm4ENS4_16DefaultPtrTraitsElEENS_6detail16IndexBoundsCheckILm5ElEESB_Lm5ESC_lEENS6_INS7_ISA_KSB_Lm4ESC_lEESG_SI_Lm5ESC_lEENS6_INS7_ISA_KlLm4ESC_lEESG_SL_Lm5ESC_lEE.num_vgpr, 22
	.set _ZN2at6native12_GLOBAL__N_140fractional_max_pool3d_backward_out_frameIdEEvN5torch10headeronly6detail27GenericPackedTensorAccessorINS5_14TensorAccessorIN3c108ArrayRefIlEET_Lm4ENS4_16DefaultPtrTraitsElEENS_6detail16IndexBoundsCheckILm5ElEESB_Lm5ESC_lEENS6_INS7_ISA_KSB_Lm4ESC_lEESG_SI_Lm5ESC_lEENS6_INS7_ISA_KlLm4ESC_lEESG_SL_Lm5ESC_lEE.num_agpr, 0
	.set _ZN2at6native12_GLOBAL__N_140fractional_max_pool3d_backward_out_frameIdEEvN5torch10headeronly6detail27GenericPackedTensorAccessorINS5_14TensorAccessorIN3c108ArrayRefIlEET_Lm4ENS4_16DefaultPtrTraitsElEENS_6detail16IndexBoundsCheckILm5ElEESB_Lm5ESC_lEENS6_INS7_ISA_KSB_Lm4ESC_lEESG_SI_Lm5ESC_lEENS6_INS7_ISA_KlLm4ESC_lEESG_SL_Lm5ESC_lEE.numbered_sgpr, 29
	.set _ZN2at6native12_GLOBAL__N_140fractional_max_pool3d_backward_out_frameIdEEvN5torch10headeronly6detail27GenericPackedTensorAccessorINS5_14TensorAccessorIN3c108ArrayRefIlEET_Lm4ENS4_16DefaultPtrTraitsElEENS_6detail16IndexBoundsCheckILm5ElEESB_Lm5ESC_lEENS6_INS7_ISA_KSB_Lm4ESC_lEESG_SI_Lm5ESC_lEENS6_INS7_ISA_KlLm4ESC_lEESG_SL_Lm5ESC_lEE.num_named_barrier, 0
	.set _ZN2at6native12_GLOBAL__N_140fractional_max_pool3d_backward_out_frameIdEEvN5torch10headeronly6detail27GenericPackedTensorAccessorINS5_14TensorAccessorIN3c108ArrayRefIlEET_Lm4ENS4_16DefaultPtrTraitsElEENS_6detail16IndexBoundsCheckILm5ElEESB_Lm5ESC_lEENS6_INS7_ISA_KSB_Lm4ESC_lEESG_SI_Lm5ESC_lEENS6_INS7_ISA_KlLm4ESC_lEESG_SL_Lm5ESC_lEE.private_seg_size, 0
	.set _ZN2at6native12_GLOBAL__N_140fractional_max_pool3d_backward_out_frameIdEEvN5torch10headeronly6detail27GenericPackedTensorAccessorINS5_14TensorAccessorIN3c108ArrayRefIlEET_Lm4ENS4_16DefaultPtrTraitsElEENS_6detail16IndexBoundsCheckILm5ElEESB_Lm5ESC_lEENS6_INS7_ISA_KSB_Lm4ESC_lEESG_SI_Lm5ESC_lEENS6_INS7_ISA_KlLm4ESC_lEESG_SL_Lm5ESC_lEE.uses_vcc, 1
	.set _ZN2at6native12_GLOBAL__N_140fractional_max_pool3d_backward_out_frameIdEEvN5torch10headeronly6detail27GenericPackedTensorAccessorINS5_14TensorAccessorIN3c108ArrayRefIlEET_Lm4ENS4_16DefaultPtrTraitsElEENS_6detail16IndexBoundsCheckILm5ElEESB_Lm5ESC_lEENS6_INS7_ISA_KSB_Lm4ESC_lEESG_SI_Lm5ESC_lEENS6_INS7_ISA_KlLm4ESC_lEESG_SL_Lm5ESC_lEE.uses_flat_scratch, 0
	.set _ZN2at6native12_GLOBAL__N_140fractional_max_pool3d_backward_out_frameIdEEvN5torch10headeronly6detail27GenericPackedTensorAccessorINS5_14TensorAccessorIN3c108ArrayRefIlEET_Lm4ENS4_16DefaultPtrTraitsElEENS_6detail16IndexBoundsCheckILm5ElEESB_Lm5ESC_lEENS6_INS7_ISA_KSB_Lm4ESC_lEESG_SI_Lm5ESC_lEENS6_INS7_ISA_KlLm4ESC_lEESG_SL_Lm5ESC_lEE.has_dyn_sized_stack, 0
	.set _ZN2at6native12_GLOBAL__N_140fractional_max_pool3d_backward_out_frameIdEEvN5torch10headeronly6detail27GenericPackedTensorAccessorINS5_14TensorAccessorIN3c108ArrayRefIlEET_Lm4ENS4_16DefaultPtrTraitsElEENS_6detail16IndexBoundsCheckILm5ElEESB_Lm5ESC_lEENS6_INS7_ISA_KSB_Lm4ESC_lEESG_SI_Lm5ESC_lEENS6_INS7_ISA_KlLm4ESC_lEESG_SL_Lm5ESC_lEE.has_recursion, 0
	.set _ZN2at6native12_GLOBAL__N_140fractional_max_pool3d_backward_out_frameIdEEvN5torch10headeronly6detail27GenericPackedTensorAccessorINS5_14TensorAccessorIN3c108ArrayRefIlEET_Lm4ENS4_16DefaultPtrTraitsElEENS_6detail16IndexBoundsCheckILm5ElEESB_Lm5ESC_lEENS6_INS7_ISA_KSB_Lm4ESC_lEESG_SI_Lm5ESC_lEENS6_INS7_ISA_KlLm4ESC_lEESG_SL_Lm5ESC_lEE.has_indirect_call, 0
	.section	.AMDGPU.csdata,"",@progbits
; Kernel info:
; codeLenInByte = 5580
; TotalNumSgprs: 33
; NumVgprs: 22
; ScratchSize: 0
; MemoryBound: 0
; FloatMode: 240
; IeeeMode: 1
; LDSByteSize: 0 bytes/workgroup (compile time only)
; SGPRBlocks: 4
; VGPRBlocks: 5
; NumSGPRsForWavesPerEU: 33
; NumVGPRsForWavesPerEU: 22
; Occupancy: 10
; WaveLimiterHint : 1
; COMPUTE_PGM_RSRC2:SCRATCH_EN: 0
; COMPUTE_PGM_RSRC2:USER_SGPR: 6
; COMPUTE_PGM_RSRC2:TRAP_HANDLER: 0
; COMPUTE_PGM_RSRC2:TGID_X_EN: 1
; COMPUTE_PGM_RSRC2:TGID_Y_EN: 1
; COMPUTE_PGM_RSRC2:TGID_Z_EN: 1
; COMPUTE_PGM_RSRC2:TIDIG_COMP_CNT: 0
	.section	.text._ZN2at6native12_GLOBAL__N_140fractional_max_pool3d_backward_out_frameIfEEvN5torch10headeronly6detail27GenericPackedTensorAccessorINS5_14TensorAccessorIN3c108ArrayRefIlEET_Lm4ENS4_16DefaultPtrTraitsElEENS_6detail16IndexBoundsCheckILm5ElEESB_Lm5ESC_lEENS6_INS7_ISA_KSB_Lm4ESC_lEESG_SI_Lm5ESC_lEENS6_INS7_ISA_KlLm4ESC_lEESG_SL_Lm5ESC_lEE,"axG",@progbits,_ZN2at6native12_GLOBAL__N_140fractional_max_pool3d_backward_out_frameIfEEvN5torch10headeronly6detail27GenericPackedTensorAccessorINS5_14TensorAccessorIN3c108ArrayRefIlEET_Lm4ENS4_16DefaultPtrTraitsElEENS_6detail16IndexBoundsCheckILm5ElEESB_Lm5ESC_lEENS6_INS7_ISA_KSB_Lm4ESC_lEESG_SI_Lm5ESC_lEENS6_INS7_ISA_KlLm4ESC_lEESG_SL_Lm5ESC_lEE,comdat
	.globl	_ZN2at6native12_GLOBAL__N_140fractional_max_pool3d_backward_out_frameIfEEvN5torch10headeronly6detail27GenericPackedTensorAccessorINS5_14TensorAccessorIN3c108ArrayRefIlEET_Lm4ENS4_16DefaultPtrTraitsElEENS_6detail16IndexBoundsCheckILm5ElEESB_Lm5ESC_lEENS6_INS7_ISA_KSB_Lm4ESC_lEESG_SI_Lm5ESC_lEENS6_INS7_ISA_KlLm4ESC_lEESG_SL_Lm5ESC_lEE ; -- Begin function _ZN2at6native12_GLOBAL__N_140fractional_max_pool3d_backward_out_frameIfEEvN5torch10headeronly6detail27GenericPackedTensorAccessorINS5_14TensorAccessorIN3c108ArrayRefIlEET_Lm4ENS4_16DefaultPtrTraitsElEENS_6detail16IndexBoundsCheckILm5ElEESB_Lm5ESC_lEENS6_INS7_ISA_KSB_Lm4ESC_lEESG_SI_Lm5ESC_lEENS6_INS7_ISA_KlLm4ESC_lEESG_SL_Lm5ESC_lEE
	.p2align	8
	.type	_ZN2at6native12_GLOBAL__N_140fractional_max_pool3d_backward_out_frameIfEEvN5torch10headeronly6detail27GenericPackedTensorAccessorINS5_14TensorAccessorIN3c108ArrayRefIlEET_Lm4ENS4_16DefaultPtrTraitsElEENS_6detail16IndexBoundsCheckILm5ElEESB_Lm5ESC_lEENS6_INS7_ISA_KSB_Lm4ESC_lEESG_SI_Lm5ESC_lEENS6_INS7_ISA_KlLm4ESC_lEESG_SL_Lm5ESC_lEE,@function
_ZN2at6native12_GLOBAL__N_140fractional_max_pool3d_backward_out_frameIfEEvN5torch10headeronly6detail27GenericPackedTensorAccessorINS5_14TensorAccessorIN3c108ArrayRefIlEET_Lm4ENS4_16DefaultPtrTraitsElEENS_6detail16IndexBoundsCheckILm5ElEESB_Lm5ESC_lEENS6_INS7_ISA_KSB_Lm4ESC_lEESG_SI_Lm5ESC_lEENS6_INS7_ISA_KlLm4ESC_lEESG_SL_Lm5ESC_lEE: ; @_ZN2at6native12_GLOBAL__N_140fractional_max_pool3d_backward_out_frameIfEEvN5torch10headeronly6detail27GenericPackedTensorAccessorINS5_14TensorAccessorIN3c108ArrayRefIlEET_Lm4ENS4_16DefaultPtrTraitsElEENS_6detail16IndexBoundsCheckILm5ElEESB_Lm5ESC_lEENS6_INS7_ISA_KSB_Lm4ESC_lEESG_SI_Lm5ESC_lEENS6_INS7_ISA_KlLm4ESC_lEESG_SL_Lm5ESC_lEE
; %bb.0:
	s_load_dword s0, s[4:5], 0x114
	s_load_dwordx4 s[12:15], s[4:5], 0x70
	s_load_dwordx2 s[10:11], s[4:5], 0x80
	v_mov_b32_e32 v2, 0
	v_mov_b32_e32 v1, v2
	;; [unrolled: 1-line block ×3, first 2 shown]
	s_waitcnt lgkmcnt(0)
	s_and_b32 s0, s0, 0xffff
	v_mad_u64_u32 v[4:5], s[0:1], s0, v3, v[0:1]
	s_mul_i32 s0, s10, s15
	s_mul_hi_u32 s1, s10, s14
	s_add_i32 s9, s1, s0
	s_mul_i32 s0, s11, s14
	s_mul_i32 s6, s10, s14
	s_add_i32 s9, s9, s0
	s_mul_i32 s0, s6, s13
	s_mul_hi_u32 s1, s6, s12
	s_add_i32 s0, s1, s0
	s_mul_i32 s1, s9, s12
	s_add_i32 s1, s0, s1
	s_mul_i32 s0, s6, s12
	v_cmp_gt_i64_e32 vcc, s[0:1], v[4:5]
	s_and_saveexec_b64 s[0:1], vcc
	s_cbranch_execz .LBB1_35
; %bb.1:
	v_or_b32_e32 v3, s11, v5
	v_cmp_ne_u64_e32 vcc, 0, v[2:3]
                                        ; implicit-def: $vgpr6_vgpr7
	s_and_saveexec_b64 s[0:1], vcc
	s_xor_b64 s[2:3], exec, s[0:1]
	s_cbranch_execz .LBB1_3
; %bb.2:
	s_ashr_i32 s12, s11, 31
	s_add_u32 s0, s10, s12
	s_mov_b32 s13, s12
	s_addc_u32 s1, s11, s12
	s_xor_b64 s[16:17], s[0:1], s[12:13]
	v_cvt_f32_u32_e32 v0, s16
	v_cvt_f32_u32_e32 v1, s17
	s_sub_u32 s13, 0, s16
	s_subb_u32 s18, 0, s17
	v_ashrrev_i32_e32 v6, 31, v5
	v_madmk_f32 v0, v1, 0x4f800000, v0
	v_rcp_f32_e32 v0, v0
	v_mul_f32_e32 v0, 0x5f7ffffc, v0
	v_mul_f32_e32 v1, 0x2f800000, v0
	v_trunc_f32_e32 v1, v1
	v_madmk_f32 v0, v1, 0xcf800000, v0
	v_cvt_u32_f32_e32 v1, v1
	v_cvt_u32_f32_e32 v0, v0
	v_readfirstlane_b32 s19, v1
	v_readfirstlane_b32 s0, v0
	s_mul_i32 s1, s13, s19
	s_mul_hi_u32 s21, s13, s0
	s_mul_i32 s20, s18, s0
	s_add_i32 s1, s21, s1
	s_add_i32 s1, s1, s20
	s_mul_i32 s22, s13, s0
	s_mul_i32 s21, s0, s1
	s_mul_hi_u32 s23, s0, s22
	s_mul_hi_u32 s20, s0, s1
	s_add_u32 s21, s23, s21
	s_addc_u32 s20, 0, s20
	s_mul_hi_u32 s24, s19, s22
	s_mul_i32 s22, s19, s22
	s_add_u32 s21, s21, s22
	s_mul_hi_u32 s23, s19, s1
	s_addc_u32 s20, s20, s24
	s_addc_u32 s21, s23, 0
	s_mul_i32 s1, s19, s1
	s_add_u32 s1, s20, s1
	s_addc_u32 s20, 0, s21
	s_add_u32 s21, s0, s1
	s_cselect_b64 s[0:1], -1, 0
	s_cmp_lg_u64 s[0:1], 0
	s_addc_u32 s19, s19, s20
	s_mul_i32 s0, s13, s19
	s_mul_hi_u32 s1, s13, s21
	s_add_i32 s0, s1, s0
	s_mul_i32 s18, s18, s21
	s_add_i32 s0, s0, s18
	s_mul_i32 s13, s13, s21
	s_mul_hi_u32 s18, s19, s13
	s_mul_i32 s20, s19, s13
	s_mul_i32 s23, s21, s0
	s_mul_hi_u32 s13, s21, s13
	s_mul_hi_u32 s22, s21, s0
	s_add_u32 s13, s13, s23
	s_addc_u32 s22, 0, s22
	s_add_u32 s13, s13, s20
	s_mul_hi_u32 s1, s19, s0
	s_addc_u32 s13, s22, s18
	s_addc_u32 s1, s1, 0
	s_mul_i32 s0, s19, s0
	s_add_u32 s0, s13, s0
	s_addc_u32 s13, 0, s1
	s_add_u32 s18, s21, s0
	s_cselect_b64 s[0:1], -1, 0
	s_cmp_lg_u64 s[0:1], 0
	v_add_co_u32_e32 v0, vcc, v4, v6
	s_addc_u32 s13, s19, s13
	v_xor_b32_e32 v7, v0, v6
	v_mad_u64_u32 v[0:1], s[0:1], v7, s13, 0
	v_mul_hi_u32 v3, v7, s18
	v_addc_co_u32_e32 v2, vcc, v5, v6, vcc
	v_xor_b32_e32 v8, v2, v6
	v_add_co_u32_e32 v9, vcc, v3, v0
	v_addc_co_u32_e32 v10, vcc, 0, v1, vcc
	v_mad_u64_u32 v[0:1], s[0:1], v8, s18, 0
	v_mad_u64_u32 v[2:3], s[0:1], v8, s13, 0
	v_add_co_u32_e32 v0, vcc, v9, v0
	v_addc_co_u32_e32 v0, vcc, v10, v1, vcc
	v_addc_co_u32_e32 v1, vcc, 0, v3, vcc
	v_add_co_u32_e32 v2, vcc, v0, v2
	v_addc_co_u32_e32 v3, vcc, 0, v1, vcc
	v_mul_lo_u32 v9, s17, v2
	v_mul_lo_u32 v10, s16, v3
	v_mad_u64_u32 v[0:1], s[0:1], s16, v2, 0
	v_add3_u32 v1, v1, v10, v9
	v_sub_u32_e32 v9, v8, v1
	v_mov_b32_e32 v10, s17
	v_sub_co_u32_e32 v0, vcc, v7, v0
	v_subb_co_u32_e64 v7, s[0:1], v9, v10, vcc
	v_subrev_co_u32_e64 v9, s[0:1], s16, v0
	v_subbrev_co_u32_e64 v7, s[0:1], 0, v7, s[0:1]
	v_cmp_le_u32_e64 s[0:1], s17, v7
	v_cndmask_b32_e64 v10, 0, -1, s[0:1]
	v_cmp_le_u32_e64 s[0:1], s16, v9
	v_cndmask_b32_e64 v9, 0, -1, s[0:1]
	v_cmp_eq_u32_e64 s[0:1], s17, v7
	v_cndmask_b32_e64 v7, v10, v9, s[0:1]
	v_add_co_u32_e64 v9, s[0:1], 2, v2
	v_subb_co_u32_e32 v1, vcc, v8, v1, vcc
	v_addc_co_u32_e64 v10, s[0:1], 0, v3, s[0:1]
	v_cmp_le_u32_e32 vcc, s17, v1
	v_add_co_u32_e64 v11, s[0:1], 1, v2
	v_cndmask_b32_e64 v8, 0, -1, vcc
	v_cmp_le_u32_e32 vcc, s16, v0
	v_addc_co_u32_e64 v12, s[0:1], 0, v3, s[0:1]
	v_cndmask_b32_e64 v0, 0, -1, vcc
	v_cmp_eq_u32_e32 vcc, s17, v1
	v_cmp_ne_u32_e64 s[0:1], 0, v7
	v_cndmask_b32_e32 v0, v8, v0, vcc
	v_cmp_ne_u32_e32 vcc, 0, v0
	v_cndmask_b32_e64 v1, v11, v9, s[0:1]
	v_cndmask_b32_e64 v7, v12, v10, s[0:1]
	v_cndmask_b32_e32 v1, v2, v1, vcc
	v_xor_b32_e32 v2, s12, v6
	v_cndmask_b32_e32 v0, v3, v7, vcc
	v_xor_b32_e32 v1, v1, v2
	v_xor_b32_e32 v0, v0, v2
	v_sub_co_u32_e32 v6, vcc, v1, v2
	v_subb_co_u32_e32 v7, vcc, v0, v2, vcc
.LBB1_3:
	s_andn2_saveexec_b64 s[0:1], s[2:3]
	s_cbranch_execz .LBB1_5
; %bb.4:
	v_cvt_f32_u32_e32 v0, s10
	s_sub_i32 s2, 0, s10
	v_mov_b32_e32 v7, 0
	v_rcp_iflag_f32_e32 v0, v0
	v_mul_f32_e32 v0, 0x4f7ffffe, v0
	v_cvt_u32_f32_e32 v0, v0
	v_mul_lo_u32 v1, s2, v0
	v_mul_hi_u32 v1, v0, v1
	v_add_u32_e32 v0, v0, v1
	v_mul_hi_u32 v0, v4, v0
	v_mul_lo_u32 v1, v0, s10
	v_add_u32_e32 v2, 1, v0
	v_sub_u32_e32 v1, v4, v1
	v_subrev_u32_e32 v3, s10, v1
	v_cmp_le_u32_e32 vcc, s10, v1
	v_cndmask_b32_e32 v1, v1, v3, vcc
	v_cndmask_b32_e32 v0, v0, v2, vcc
	v_add_u32_e32 v2, 1, v0
	v_cmp_le_u32_e32 vcc, s10, v1
	v_cndmask_b32_e32 v6, v0, v2, vcc
.LBB1_5:
	s_or_b64 exec, exec, s[0:1]
	v_or_b32_e32 v1, s15, v7
	v_mov_b32_e32 v0, 0
	v_cmp_ne_u64_e32 vcc, 0, v[0:1]
                                        ; implicit-def: $vgpr0_vgpr1
	s_and_saveexec_b64 s[0:1], vcc
	s_xor_b64 s[12:13], exec, s[0:1]
	s_cbranch_execz .LBB1_7
; %bb.6:
	s_ashr_i32 s0, s15, 31
	s_add_u32 s2, s14, s0
	s_mov_b32 s1, s0
	s_addc_u32 s3, s15, s0
	s_xor_b64 s[16:17], s[2:3], s[0:1]
	v_cvt_f32_u32_e32 v0, s16
	v_cvt_f32_u32_e32 v1, s17
	s_sub_u32 s2, 0, s16
	s_subb_u32 s3, 0, s17
	v_ashrrev_i32_e32 v8, 31, v7
	v_madmk_f32 v0, v1, 0x4f800000, v0
	v_rcp_f32_e32 v0, v0
	v_mul_f32_e32 v0, 0x5f7ffffc, v0
	v_mul_f32_e32 v1, 0x2f800000, v0
	v_trunc_f32_e32 v1, v1
	v_madmk_f32 v0, v1, 0xcf800000, v0
	v_cvt_u32_f32_e32 v1, v1
	v_cvt_u32_f32_e32 v0, v0
	v_readfirstlane_b32 s15, v1
	v_readfirstlane_b32 s0, v0
	s_mul_i32 s1, s2, s15
	s_mul_hi_u32 s19, s2, s0
	s_mul_i32 s18, s3, s0
	s_add_i32 s1, s19, s1
	s_add_i32 s1, s1, s18
	s_mul_i32 s20, s2, s0
	s_mul_i32 s19, s0, s1
	s_mul_hi_u32 s21, s0, s20
	s_mul_hi_u32 s18, s0, s1
	s_add_u32 s19, s21, s19
	s_addc_u32 s18, 0, s18
	s_mul_hi_u32 s22, s15, s20
	s_mul_i32 s20, s15, s20
	s_add_u32 s19, s19, s20
	s_mul_hi_u32 s21, s15, s1
	s_addc_u32 s18, s18, s22
	s_addc_u32 s19, s21, 0
	s_mul_i32 s1, s15, s1
	s_add_u32 s1, s18, s1
	s_addc_u32 s18, 0, s19
	s_add_u32 s19, s0, s1
	s_cselect_b64 s[0:1], -1, 0
	s_cmp_lg_u64 s[0:1], 0
	s_addc_u32 s15, s15, s18
	s_mul_i32 s0, s2, s15
	s_mul_hi_u32 s1, s2, s19
	s_add_i32 s0, s1, s0
	s_mul_i32 s3, s3, s19
	s_add_i32 s0, s0, s3
	s_mul_i32 s2, s2, s19
	s_mul_hi_u32 s3, s15, s2
	s_mul_i32 s18, s15, s2
	s_mul_i32 s21, s19, s0
	s_mul_hi_u32 s2, s19, s2
	s_mul_hi_u32 s20, s19, s0
	s_add_u32 s2, s2, s21
	s_addc_u32 s20, 0, s20
	s_add_u32 s2, s2, s18
	s_mul_hi_u32 s1, s15, s0
	s_addc_u32 s2, s20, s3
	s_addc_u32 s1, s1, 0
	s_mul_i32 s0, s15, s0
	s_add_u32 s0, s2, s0
	s_addc_u32 s2, 0, s1
	s_add_u32 s3, s19, s0
	s_cselect_b64 s[0:1], -1, 0
	s_cmp_lg_u64 s[0:1], 0
	v_add_co_u32_e32 v0, vcc, v6, v8
	s_addc_u32 s2, s15, s2
	v_xor_b32_e32 v9, v0, v8
	v_mad_u64_u32 v[0:1], s[0:1], v9, s2, 0
	v_mul_hi_u32 v3, v9, s3
	v_addc_co_u32_e32 v2, vcc, v7, v8, vcc
	v_xor_b32_e32 v10, v2, v8
	v_add_co_u32_e32 v11, vcc, v3, v0
	v_addc_co_u32_e32 v12, vcc, 0, v1, vcc
	v_mad_u64_u32 v[0:1], s[0:1], v10, s3, 0
	v_mad_u64_u32 v[2:3], s[0:1], v10, s2, 0
	v_add_co_u32_e32 v0, vcc, v11, v0
	v_addc_co_u32_e32 v0, vcc, v12, v1, vcc
	v_addc_co_u32_e32 v1, vcc, 0, v3, vcc
	v_add_co_u32_e32 v0, vcc, v0, v2
	v_addc_co_u32_e32 v1, vcc, 0, v1, vcc
	v_mul_lo_u32 v2, s17, v0
	v_mul_lo_u32 v3, s16, v1
	v_mad_u64_u32 v[0:1], s[0:1], s16, v0, 0
	v_add3_u32 v1, v1, v3, v2
	v_sub_u32_e32 v2, v10, v1
	v_mov_b32_e32 v3, s17
	v_sub_co_u32_e32 v0, vcc, v9, v0
	v_subb_co_u32_e64 v2, s[0:1], v2, v3, vcc
	v_subrev_co_u32_e64 v9, s[0:1], s16, v0
	v_subbrev_co_u32_e64 v11, s[2:3], 0, v2, s[0:1]
	v_cmp_le_u32_e64 s[2:3], s17, v11
	v_cndmask_b32_e64 v12, 0, -1, s[2:3]
	v_cmp_le_u32_e64 s[2:3], s16, v9
	v_subb_co_u32_e64 v2, s[0:1], v2, v3, s[0:1]
	v_cndmask_b32_e64 v13, 0, -1, s[2:3]
	v_cmp_eq_u32_e64 s[2:3], s17, v11
	v_subrev_co_u32_e64 v3, s[0:1], s16, v9
	v_subb_co_u32_e32 v1, vcc, v10, v1, vcc
	v_cndmask_b32_e64 v12, v12, v13, s[2:3]
	v_subbrev_co_u32_e64 v2, s[0:1], 0, v2, s[0:1]
	v_cmp_le_u32_e32 vcc, s17, v1
	v_cmp_ne_u32_e64 s[0:1], 0, v12
	v_cndmask_b32_e64 v10, 0, -1, vcc
	v_cmp_le_u32_e32 vcc, s16, v0
	v_cndmask_b32_e64 v2, v11, v2, s[0:1]
	v_cndmask_b32_e64 v11, 0, -1, vcc
	v_cmp_eq_u32_e32 vcc, s17, v1
	v_cndmask_b32_e32 v10, v10, v11, vcc
	v_cmp_ne_u32_e32 vcc, 0, v10
	v_cndmask_b32_e32 v1, v1, v2, vcc
	v_cndmask_b32_e64 v2, v9, v3, s[0:1]
	v_cndmask_b32_e32 v0, v0, v2, vcc
	v_xor_b32_e32 v0, v0, v8
	v_xor_b32_e32 v1, v1, v8
	v_sub_co_u32_e32 v0, vcc, v0, v8
	v_subb_co_u32_e32 v1, vcc, v1, v8, vcc
.LBB1_7:
	s_andn2_saveexec_b64 s[0:1], s[12:13]
	s_cbranch_execz .LBB1_9
; %bb.8:
	v_cvt_f32_u32_e32 v0, s14
	s_sub_i32 s2, 0, s14
	v_rcp_iflag_f32_e32 v0, v0
	v_mul_f32_e32 v0, 0x4f7ffffe, v0
	v_cvt_u32_f32_e32 v0, v0
	v_mul_lo_u32 v1, s2, v0
	v_mul_hi_u32 v1, v0, v1
	v_add_u32_e32 v0, v0, v1
	v_mul_hi_u32 v0, v6, v0
	v_mul_lo_u32 v0, v0, s14
	v_sub_u32_e32 v0, v6, v0
	v_subrev_u32_e32 v1, s14, v0
	v_cmp_le_u32_e32 vcc, s14, v0
	v_cndmask_b32_e32 v0, v0, v1, vcc
	v_subrev_u32_e32 v1, s14, v0
	v_cmp_le_u32_e32 vcc, s14, v0
	v_cndmask_b32_e32 v0, v0, v1, vcc
	v_mov_b32_e32 v1, 0
.LBB1_9:
	s_or_b64 exec, exec, s[0:1]
	v_or_b32_e32 v3, s9, v5
	v_mov_b32_e32 v2, 0
	v_cmp_ne_u64_e32 vcc, 0, v[2:3]
                                        ; implicit-def: $vgpr2_vgpr3
	s_and_saveexec_b64 s[0:1], vcc
	s_xor_b64 s[2:3], exec, s[0:1]
	s_cbranch_execz .LBB1_11
; %bb.10:
	s_ashr_i32 s12, s9, 31
	s_add_u32 s0, s6, s12
	s_mov_b32 s13, s12
	s_addc_u32 s1, s9, s12
	s_xor_b64 s[14:15], s[0:1], s[12:13]
	v_cvt_f32_u32_e32 v2, s14
	v_cvt_f32_u32_e32 v3, s15
	s_sub_u32 s9, 0, s14
	s_subb_u32 s13, 0, s15
	v_ashrrev_i32_e32 v10, 31, v5
	v_madmk_f32 v2, v3, 0x4f800000, v2
	v_rcp_f32_e32 v2, v2
	v_mul_f32_e32 v2, 0x5f7ffffc, v2
	v_mul_f32_e32 v3, 0x2f800000, v2
	v_trunc_f32_e32 v3, v3
	v_madmk_f32 v2, v3, 0xcf800000, v2
	v_cvt_u32_f32_e32 v3, v3
	v_cvt_u32_f32_e32 v2, v2
	v_readfirstlane_b32 s16, v3
	v_readfirstlane_b32 s0, v2
	s_mul_i32 s1, s9, s16
	s_mul_hi_u32 s18, s9, s0
	s_mul_i32 s17, s13, s0
	s_add_i32 s1, s18, s1
	s_add_i32 s1, s1, s17
	s_mul_i32 s19, s9, s0
	s_mul_i32 s18, s0, s1
	s_mul_hi_u32 s20, s0, s19
	s_mul_hi_u32 s17, s0, s1
	s_add_u32 s18, s20, s18
	s_addc_u32 s17, 0, s17
	s_mul_hi_u32 s21, s16, s19
	s_mul_i32 s19, s16, s19
	s_add_u32 s18, s18, s19
	s_mul_hi_u32 s20, s16, s1
	s_addc_u32 s17, s17, s21
	s_addc_u32 s18, s20, 0
	s_mul_i32 s1, s16, s1
	s_add_u32 s1, s17, s1
	s_addc_u32 s17, 0, s18
	s_add_u32 s18, s0, s1
	s_cselect_b64 s[0:1], -1, 0
	s_cmp_lg_u64 s[0:1], 0
	s_addc_u32 s16, s16, s17
	s_mul_i32 s0, s9, s16
	s_mul_hi_u32 s1, s9, s18
	s_add_i32 s0, s1, s0
	s_mul_i32 s13, s13, s18
	s_add_i32 s0, s0, s13
	s_mul_i32 s9, s9, s18
	s_mul_hi_u32 s13, s16, s9
	s_mul_i32 s17, s16, s9
	s_mul_i32 s20, s18, s0
	s_mul_hi_u32 s9, s18, s9
	s_mul_hi_u32 s19, s18, s0
	s_add_u32 s9, s9, s20
	s_addc_u32 s19, 0, s19
	s_add_u32 s9, s9, s17
	s_mul_hi_u32 s1, s16, s0
	s_addc_u32 s9, s19, s13
	s_addc_u32 s1, s1, 0
	s_mul_i32 s0, s16, s0
	s_add_u32 s0, s9, s0
	s_addc_u32 s9, 0, s1
	s_add_u32 s13, s18, s0
	s_cselect_b64 s[0:1], -1, 0
	s_cmp_lg_u64 s[0:1], 0
	v_add_co_u32_e32 v2, vcc, v4, v10
	s_addc_u32 s9, s16, s9
	v_xor_b32_e32 v11, v2, v10
	v_mad_u64_u32 v[2:3], s[0:1], v11, s9, 0
	v_mul_hi_u32 v9, v11, s13
	v_addc_co_u32_e32 v8, vcc, v5, v10, vcc
	v_xor_b32_e32 v12, v8, v10
	v_add_co_u32_e32 v13, vcc, v9, v2
	v_addc_co_u32_e32 v14, vcc, 0, v3, vcc
	v_mad_u64_u32 v[2:3], s[0:1], v12, s13, 0
	v_mad_u64_u32 v[8:9], s[0:1], v12, s9, 0
	v_add_co_u32_e32 v2, vcc, v13, v2
	v_addc_co_u32_e32 v2, vcc, v14, v3, vcc
	v_addc_co_u32_e32 v3, vcc, 0, v9, vcc
	v_add_co_u32_e32 v8, vcc, v2, v8
	v_addc_co_u32_e32 v9, vcc, 0, v3, vcc
	v_mul_lo_u32 v13, s15, v8
	v_mul_lo_u32 v14, s14, v9
	v_mad_u64_u32 v[2:3], s[0:1], s14, v8, 0
	v_add3_u32 v3, v3, v14, v13
	v_sub_u32_e32 v13, v12, v3
	v_mov_b32_e32 v14, s15
	v_sub_co_u32_e32 v2, vcc, v11, v2
	v_subb_co_u32_e64 v11, s[0:1], v13, v14, vcc
	v_subrev_co_u32_e64 v13, s[0:1], s14, v2
	v_subbrev_co_u32_e64 v11, s[0:1], 0, v11, s[0:1]
	v_cmp_le_u32_e64 s[0:1], s15, v11
	v_cndmask_b32_e64 v14, 0, -1, s[0:1]
	v_cmp_le_u32_e64 s[0:1], s14, v13
	v_cndmask_b32_e64 v13, 0, -1, s[0:1]
	v_cmp_eq_u32_e64 s[0:1], s15, v11
	v_cndmask_b32_e64 v11, v14, v13, s[0:1]
	v_add_co_u32_e64 v13, s[0:1], 2, v8
	v_subb_co_u32_e32 v3, vcc, v12, v3, vcc
	v_addc_co_u32_e64 v14, s[0:1], 0, v9, s[0:1]
	v_cmp_le_u32_e32 vcc, s15, v3
	v_add_co_u32_e64 v15, s[0:1], 1, v8
	v_cndmask_b32_e64 v12, 0, -1, vcc
	v_cmp_le_u32_e32 vcc, s14, v2
	v_addc_co_u32_e64 v16, s[0:1], 0, v9, s[0:1]
	v_cndmask_b32_e64 v2, 0, -1, vcc
	v_cmp_eq_u32_e32 vcc, s15, v3
	v_cmp_ne_u32_e64 s[0:1], 0, v11
	v_cndmask_b32_e32 v2, v12, v2, vcc
	v_cndmask_b32_e64 v11, v16, v14, s[0:1]
	v_cmp_ne_u32_e32 vcc, 0, v2
	v_cndmask_b32_e64 v3, v15, v13, s[0:1]
	v_cndmask_b32_e32 v2, v9, v11, vcc
	v_cndmask_b32_e32 v3, v8, v3, vcc
	v_xor_b32_e32 v8, s12, v10
	v_xor_b32_e32 v9, v2, v8
	;; [unrolled: 1-line block ×3, first 2 shown]
	v_sub_co_u32_e32 v2, vcc, v2, v8
	v_subb_co_u32_e32 v3, vcc, v9, v8, vcc
.LBB1_11:
	s_andn2_saveexec_b64 s[0:1], s[2:3]
	s_cbranch_execz .LBB1_13
; %bb.12:
	v_cvt_f32_u32_e32 v2, s6
	s_sub_i32 s2, 0, s6
	v_rcp_iflag_f32_e32 v2, v2
	v_mul_f32_e32 v2, 0x4f7ffffe, v2
	v_cvt_u32_f32_e32 v2, v2
	v_mul_lo_u32 v3, s2, v2
	v_mul_hi_u32 v3, v2, v3
	v_add_u32_e32 v2, v2, v3
	v_mul_hi_u32 v2, v4, v2
	v_mul_lo_u32 v3, v2, s6
	v_add_u32_e32 v8, 1, v2
	v_sub_u32_e32 v3, v4, v3
	v_subrev_u32_e32 v9, s6, v3
	v_cmp_le_u32_e32 vcc, s6, v3
	v_cndmask_b32_e32 v3, v3, v9, vcc
	v_cndmask_b32_e32 v2, v2, v8, vcc
	v_add_u32_e32 v8, 1, v2
	v_cmp_le_u32_e32 vcc, s6, v3
	v_cndmask_b32_e32 v2, v2, v8, vcc
	v_mov_b32_e32 v3, 0
.LBB1_13:
	s_or_b64 exec, exec, s[0:1]
	s_load_dwordx8 s[12:19], s[4:5], 0xe0
	v_mul_lo_u32 v8, v7, s10
	v_mul_lo_u32 v9, v6, s11
	v_mad_u64_u32 v[6:7], s[0:1], v6, s10, 0
	s_load_dwordx2 s[0:1], s[4:5], 0x100
	s_load_dwordx2 s[2:3], s[4:5], 0xb0
	s_waitcnt lgkmcnt(0)
	s_mul_i32 s6, s13, s8
	s_mul_hi_u32 s9, s12, s8
	s_add_i32 s11, s9, s6
	s_mul_i32 s10, s12, s8
	s_lshl_b64 s[10:11], s[10:11], 3
	s_add_u32 s6, s2, s10
	v_add3_u32 v7, v7, v9, v8
	v_sub_co_u32_e32 v12, vcc, v4, v6
	s_addc_u32 s9, s3, s11
	s_mul_i32 s2, s15, s7
	s_mul_hi_u32 s3, s14, s7
	v_subb_co_u32_e32 v13, vcc, v5, v7, vcc
	s_add_i32 s3, s3, s2
	s_mul_i32 s2, s14, s7
	v_mul_lo_u32 v6, s17, v2
	v_mul_lo_u32 v7, s16, v3
	v_mad_u64_u32 v[4:5], s[10:11], s16, v2, 0
	s_lshl_b64 s[2:3], s[2:3], 3
	s_add_u32 s6, s6, s2
	s_addc_u32 s2, s9, s3
	v_add3_u32 v5, v5, v7, v6
	v_mov_b32_e32 v8, s2
	v_mul_lo_u32 v9, s19, v0
	v_mul_lo_u32 v10, s18, v1
	v_mad_u64_u32 v[6:7], s[2:3], s18, v0, 0
	v_lshlrev_b64 v[4:5], 3, v[4:5]
	v_add_co_u32_e32 v11, vcc, s6, v4
	v_add3_u32 v7, v7, v10, v9
	v_addc_co_u32_e32 v8, vcc, v8, v5, vcc
	v_lshlrev_b64 v[4:5], 3, v[6:7]
	v_mul_lo_u32 v9, s1, v12
	v_mul_lo_u32 v10, s0, v13
	v_mad_u64_u32 v[6:7], s[0:1], s0, v12, 0
	v_add_co_u32_e32 v11, vcc, v11, v4
	v_add3_u32 v7, v7, v10, v9
	v_addc_co_u32_e32 v8, vcc, v8, v5, vcc
	v_lshlrev_b64 v[4:5], 3, v[6:7]
	s_mov_b64 s[0:1], 0
	v_add_co_u32_e32 v4, vcc, v11, v4
	v_addc_co_u32_e32 v5, vcc, v8, v5, vcc
	global_load_dwordx2 v[4:5], v[4:5], off
	s_waitcnt vmcnt(0)
	v_cmp_lt_i64_e32 vcc, -1, v[4:5]
	s_and_saveexec_b64 s[2:3], vcc
	s_xor_b64 s[10:11], exec, s[2:3]
	s_cbranch_execz .LBB1_32
; %bb.14:
	s_load_dwordx4 s[12:15], s[4:5], 0x20
	v_mov_b32_e32 v6, 0
	s_waitcnt lgkmcnt(0)
	s_mul_i32 s0, s12, s15
	s_mul_hi_u32 s1, s12, s14
	s_mul_i32 s2, s13, s14
	s_add_i32 s0, s1, s0
	s_add_i32 s0, s0, s2
	v_or_b32_e32 v7, s0, v5
	v_cmp_ne_u64_e32 vcc, 0, v[6:7]
	s_mul_i32 s6, s12, s14
                                        ; implicit-def: $vgpr6_vgpr7
	s_and_saveexec_b64 s[2:3], vcc
	s_xor_b64 s[2:3], exec, s[2:3]
	s_cbranch_execz .LBB1_16
; %bb.15:
	s_ashr_i32 s16, s0, 31
	s_add_u32 s18, s6, s16
	s_mov_b32 s17, s16
	s_addc_u32 s19, s0, s16
	s_xor_b64 s[18:19], s[18:19], s[16:17]
	v_cvt_f32_u32_e32 v6, s18
	v_cvt_f32_u32_e32 v7, s19
	s_sub_u32 s9, 0, s18
	s_subb_u32 s17, 0, s19
	v_ashrrev_i32_e32 v10, 31, v5
	v_madmk_f32 v6, v7, 0x4f800000, v6
	v_rcp_f32_e32 v6, v6
	v_mul_f32_e32 v6, 0x5f7ffffc, v6
	v_mul_f32_e32 v7, 0x2f800000, v6
	v_trunc_f32_e32 v7, v7
	v_madmk_f32 v6, v7, 0xcf800000, v6
	v_cvt_u32_f32_e32 v7, v7
	v_cvt_u32_f32_e32 v6, v6
	v_readfirstlane_b32 s20, v7
	v_readfirstlane_b32 s0, v6
	s_mul_i32 s1, s9, s20
	s_mul_hi_u32 s22, s9, s0
	s_mul_i32 s21, s17, s0
	s_add_i32 s1, s22, s1
	s_add_i32 s1, s1, s21
	s_mul_i32 s23, s9, s0
	s_mul_i32 s22, s0, s1
	s_mul_hi_u32 s24, s0, s23
	s_mul_hi_u32 s21, s0, s1
	s_add_u32 s22, s24, s22
	s_addc_u32 s21, 0, s21
	s_mul_hi_u32 s25, s20, s23
	s_mul_i32 s23, s20, s23
	s_add_u32 s22, s22, s23
	s_mul_hi_u32 s24, s20, s1
	s_addc_u32 s21, s21, s25
	s_addc_u32 s22, s24, 0
	s_mul_i32 s1, s20, s1
	s_add_u32 s1, s21, s1
	s_addc_u32 s21, 0, s22
	s_add_u32 s22, s0, s1
	s_cselect_b64 s[0:1], -1, 0
	s_cmp_lg_u64 s[0:1], 0
	s_addc_u32 s20, s20, s21
	s_mul_i32 s0, s9, s20
	s_mul_hi_u32 s1, s9, s22
	s_add_i32 s0, s1, s0
	s_mul_i32 s17, s17, s22
	s_add_i32 s0, s0, s17
	s_mul_i32 s9, s9, s22
	s_mul_hi_u32 s17, s20, s9
	s_mul_i32 s21, s20, s9
	s_mul_i32 s24, s22, s0
	s_mul_hi_u32 s9, s22, s9
	s_mul_hi_u32 s23, s22, s0
	s_add_u32 s9, s9, s24
	s_addc_u32 s23, 0, s23
	s_add_u32 s9, s9, s21
	s_mul_hi_u32 s1, s20, s0
	s_addc_u32 s9, s23, s17
	s_addc_u32 s1, s1, 0
	s_mul_i32 s0, s20, s0
	s_add_u32 s0, s9, s0
	s_addc_u32 s9, 0, s1
	s_add_u32 s17, s22, s0
	s_cselect_b64 s[0:1], -1, 0
	s_cmp_lg_u64 s[0:1], 0
	v_add_co_u32_e32 v6, vcc, v4, v10
	s_addc_u32 s9, s20, s9
	v_xor_b32_e32 v11, v6, v10
	v_mad_u64_u32 v[6:7], s[0:1], v11, s9, 0
	v_mul_hi_u32 v9, v11, s17
	v_addc_co_u32_e32 v8, vcc, v5, v10, vcc
	v_xor_b32_e32 v14, v8, v10
	v_add_co_u32_e32 v15, vcc, v9, v6
	v_addc_co_u32_e32 v16, vcc, 0, v7, vcc
	v_mad_u64_u32 v[6:7], s[0:1], v14, s17, 0
	v_mad_u64_u32 v[8:9], s[0:1], v14, s9, 0
	v_add_co_u32_e32 v6, vcc, v15, v6
	v_addc_co_u32_e32 v6, vcc, v16, v7, vcc
	v_addc_co_u32_e32 v7, vcc, 0, v9, vcc
	v_add_co_u32_e32 v8, vcc, v6, v8
	v_addc_co_u32_e32 v9, vcc, 0, v7, vcc
	v_mul_lo_u32 v15, s19, v8
	v_mul_lo_u32 v16, s18, v9
	v_mad_u64_u32 v[6:7], s[0:1], s18, v8, 0
	v_add3_u32 v7, v7, v16, v15
	v_sub_u32_e32 v15, v14, v7
	v_mov_b32_e32 v16, s19
	v_sub_co_u32_e32 v6, vcc, v11, v6
	v_subb_co_u32_e64 v11, s[0:1], v15, v16, vcc
	v_subrev_co_u32_e64 v15, s[0:1], s18, v6
	v_subbrev_co_u32_e64 v11, s[0:1], 0, v11, s[0:1]
	v_cmp_le_u32_e64 s[0:1], s19, v11
	v_cndmask_b32_e64 v16, 0, -1, s[0:1]
	v_cmp_le_u32_e64 s[0:1], s18, v15
	v_cndmask_b32_e64 v15, 0, -1, s[0:1]
	v_cmp_eq_u32_e64 s[0:1], s19, v11
	v_cndmask_b32_e64 v11, v16, v15, s[0:1]
	v_add_co_u32_e64 v15, s[0:1], 2, v8
	v_subb_co_u32_e32 v7, vcc, v14, v7, vcc
	v_addc_co_u32_e64 v16, s[0:1], 0, v9, s[0:1]
	v_cmp_le_u32_e32 vcc, s19, v7
	v_add_co_u32_e64 v17, s[0:1], 1, v8
	v_cndmask_b32_e64 v14, 0, -1, vcc
	v_cmp_le_u32_e32 vcc, s18, v6
	v_addc_co_u32_e64 v18, s[0:1], 0, v9, s[0:1]
	v_cndmask_b32_e64 v6, 0, -1, vcc
	v_cmp_eq_u32_e32 vcc, s19, v7
	v_cmp_ne_u32_e64 s[0:1], 0, v11
	v_cndmask_b32_e32 v6, v14, v6, vcc
	v_cndmask_b32_e64 v11, v18, v16, s[0:1]
	v_cmp_ne_u32_e32 vcc, 0, v6
	v_cndmask_b32_e64 v7, v17, v15, s[0:1]
	v_cndmask_b32_e32 v6, v9, v11, vcc
	v_cndmask_b32_e32 v7, v8, v7, vcc
	v_xor_b32_e32 v8, s16, v10
	v_xor_b32_e32 v9, v6, v8
	;; [unrolled: 1-line block ×3, first 2 shown]
	v_sub_co_u32_e32 v6, vcc, v6, v8
	v_subb_co_u32_e32 v7, vcc, v9, v8, vcc
.LBB1_16:
	s_andn2_saveexec_b64 s[0:1], s[2:3]
	s_cbranch_execz .LBB1_18
; %bb.17:
	v_cvt_f32_u32_e32 v6, s6
	s_sub_i32 s2, 0, s6
	v_rcp_iflag_f32_e32 v6, v6
	v_mul_f32_e32 v6, 0x4f7ffffe, v6
	v_cvt_u32_f32_e32 v6, v6
	v_mul_lo_u32 v7, s2, v6
	v_mul_hi_u32 v7, v6, v7
	v_add_u32_e32 v6, v6, v7
	v_mul_hi_u32 v6, v4, v6
	v_mul_lo_u32 v7, v6, s6
	v_add_u32_e32 v8, 1, v6
	v_sub_u32_e32 v7, v4, v7
	v_subrev_u32_e32 v9, s6, v7
	v_cmp_le_u32_e32 vcc, s6, v7
	v_cndmask_b32_e32 v7, v7, v9, vcc
	v_cndmask_b32_e32 v6, v6, v8, vcc
	v_add_u32_e32 v8, 1, v6
	v_cmp_le_u32_e32 vcc, s6, v7
	v_cndmask_b32_e32 v6, v6, v8, vcc
	v_mov_b32_e32 v7, 0
.LBB1_18:
	s_or_b64 exec, exec, s[0:1]
	s_load_dwordx2 s[0:1], s[4:5], 0x18
	s_mov_b64 s[16:17], 0
	s_waitcnt lgkmcnt(0)
	v_cmp_le_i64_e32 vcc, s[0:1], v[6:7]
	s_and_saveexec_b64 s[0:1], vcc
	s_xor_b64 s[0:1], exec, s[0:1]
	s_cbranch_execnz .LBB1_37
; %bb.19:
	s_andn2_saveexec_b64 s[18:19], s[0:1]
	s_cbranch_execz .LBB1_31
.LBB1_20:
	v_or_b32_e32 v9, s15, v5
	v_mov_b32_e32 v8, 0
	v_cmp_ne_u64_e32 vcc, 0, v[8:9]
                                        ; implicit-def: $vgpr8_vgpr9
	s_and_saveexec_b64 s[0:1], vcc
	s_xor_b64 s[2:3], exec, s[0:1]
	s_cbranch_execz .LBB1_22
; %bb.21:
	s_ashr_i32 s20, s15, 31
	s_add_u32 s0, s14, s20
	s_mov_b32 s21, s20
	s_addc_u32 s1, s15, s20
	s_xor_b64 s[22:23], s[0:1], s[20:21]
	v_cvt_f32_u32_e32 v8, s22
	v_cvt_f32_u32_e32 v9, s23
	s_sub_u32 s6, 0, s22
	s_subb_u32 s9, 0, s23
	v_ashrrev_i32_e32 v14, 31, v5
	v_madmk_f32 v8, v9, 0x4f800000, v8
	v_rcp_f32_e32 v8, v8
	v_mul_f32_e32 v8, 0x5f7ffffc, v8
	v_mul_f32_e32 v9, 0x2f800000, v8
	v_trunc_f32_e32 v9, v9
	v_madmk_f32 v8, v9, 0xcf800000, v8
	v_cvt_u32_f32_e32 v9, v9
	v_cvt_u32_f32_e32 v8, v8
	v_readfirstlane_b32 s21, v9
	v_readfirstlane_b32 s0, v8
	s_mul_i32 s1, s6, s21
	s_mul_hi_u32 s25, s6, s0
	s_mul_i32 s24, s9, s0
	s_add_i32 s1, s25, s1
	s_add_i32 s1, s1, s24
	s_mul_i32 s26, s6, s0
	s_mul_i32 s25, s0, s1
	s_mul_hi_u32 s27, s0, s26
	s_mul_hi_u32 s24, s0, s1
	s_add_u32 s25, s27, s25
	s_addc_u32 s24, 0, s24
	s_mul_hi_u32 s28, s21, s26
	s_mul_i32 s26, s21, s26
	s_add_u32 s25, s25, s26
	s_mul_hi_u32 s27, s21, s1
	s_addc_u32 s24, s24, s28
	s_addc_u32 s25, s27, 0
	s_mul_i32 s1, s21, s1
	s_add_u32 s1, s24, s1
	s_addc_u32 s24, 0, s25
	s_add_u32 s25, s0, s1
	s_cselect_b64 s[0:1], -1, 0
	s_cmp_lg_u64 s[0:1], 0
	s_addc_u32 s21, s21, s24
	s_mul_i32 s0, s6, s21
	s_mul_hi_u32 s1, s6, s25
	s_add_i32 s0, s1, s0
	s_mul_i32 s9, s9, s25
	s_add_i32 s0, s0, s9
	s_mul_i32 s6, s6, s25
	s_mul_hi_u32 s9, s21, s6
	s_mul_i32 s24, s21, s6
	s_mul_i32 s27, s25, s0
	s_mul_hi_u32 s6, s25, s6
	s_mul_hi_u32 s26, s25, s0
	s_add_u32 s6, s6, s27
	s_addc_u32 s26, 0, s26
	s_add_u32 s6, s6, s24
	s_mul_hi_u32 s1, s21, s0
	s_addc_u32 s6, s26, s9
	s_addc_u32 s1, s1, 0
	s_mul_i32 s0, s21, s0
	s_add_u32 s0, s6, s0
	s_addc_u32 s6, 0, s1
	s_add_u32 s9, s25, s0
	s_cselect_b64 s[0:1], -1, 0
	s_cmp_lg_u64 s[0:1], 0
	v_add_co_u32_e32 v8, vcc, v4, v14
	s_addc_u32 s6, s21, s6
	v_xor_b32_e32 v15, v8, v14
	v_mad_u64_u32 v[8:9], s[0:1], v15, s6, 0
	v_mul_hi_u32 v11, v15, s9
	v_addc_co_u32_e32 v10, vcc, v5, v14, vcc
	v_xor_b32_e32 v16, v10, v14
	v_add_co_u32_e32 v17, vcc, v11, v8
	v_addc_co_u32_e32 v18, vcc, 0, v9, vcc
	v_mad_u64_u32 v[8:9], s[0:1], v16, s9, 0
	v_mad_u64_u32 v[10:11], s[0:1], v16, s6, 0
	v_add_co_u32_e32 v8, vcc, v17, v8
	v_addc_co_u32_e32 v8, vcc, v18, v9, vcc
	v_addc_co_u32_e32 v9, vcc, 0, v11, vcc
	v_add_co_u32_e32 v10, vcc, v8, v10
	v_addc_co_u32_e32 v11, vcc, 0, v9, vcc
	v_mul_lo_u32 v17, s23, v10
	v_mul_lo_u32 v18, s22, v11
	v_mad_u64_u32 v[8:9], s[0:1], s22, v10, 0
	v_add3_u32 v9, v9, v18, v17
	v_sub_u32_e32 v17, v16, v9
	v_mov_b32_e32 v18, s23
	v_sub_co_u32_e32 v8, vcc, v15, v8
	v_subb_co_u32_e64 v15, s[0:1], v17, v18, vcc
	v_subrev_co_u32_e64 v17, s[0:1], s22, v8
	v_subbrev_co_u32_e64 v15, s[0:1], 0, v15, s[0:1]
	v_cmp_le_u32_e64 s[0:1], s23, v15
	v_cndmask_b32_e64 v18, 0, -1, s[0:1]
	v_cmp_le_u32_e64 s[0:1], s22, v17
	v_cndmask_b32_e64 v17, 0, -1, s[0:1]
	v_cmp_eq_u32_e64 s[0:1], s23, v15
	v_cndmask_b32_e64 v15, v18, v17, s[0:1]
	v_add_co_u32_e64 v17, s[0:1], 2, v10
	v_subb_co_u32_e32 v9, vcc, v16, v9, vcc
	v_addc_co_u32_e64 v18, s[0:1], 0, v11, s[0:1]
	v_cmp_le_u32_e32 vcc, s23, v9
	v_add_co_u32_e64 v19, s[0:1], 1, v10
	v_cndmask_b32_e64 v16, 0, -1, vcc
	v_cmp_le_u32_e32 vcc, s22, v8
	v_addc_co_u32_e64 v20, s[0:1], 0, v11, s[0:1]
	v_cndmask_b32_e64 v8, 0, -1, vcc
	v_cmp_eq_u32_e32 vcc, s23, v9
	v_cmp_ne_u32_e64 s[0:1], 0, v15
	v_cndmask_b32_e32 v8, v16, v8, vcc
	v_cndmask_b32_e64 v15, v20, v18, s[0:1]
	v_cmp_ne_u32_e32 vcc, 0, v8
	v_cndmask_b32_e64 v9, v19, v17, s[0:1]
	v_cndmask_b32_e32 v8, v11, v15, vcc
	v_cndmask_b32_e32 v9, v10, v9, vcc
	v_xor_b32_e32 v10, s20, v14
	v_xor_b32_e32 v11, v8, v10
	;; [unrolled: 1-line block ×3, first 2 shown]
	v_sub_co_u32_e32 v8, vcc, v8, v10
	v_subb_co_u32_e32 v9, vcc, v11, v10, vcc
.LBB1_22:
	s_andn2_saveexec_b64 s[0:1], s[2:3]
	s_cbranch_execz .LBB1_24
; %bb.23:
	v_cvt_f32_u32_e32 v8, s14
	s_sub_i32 s2, 0, s14
	v_rcp_iflag_f32_e32 v8, v8
	v_mul_f32_e32 v8, 0x4f7ffffe, v8
	v_cvt_u32_f32_e32 v8, v8
	v_mul_lo_u32 v9, s2, v8
	v_mul_hi_u32 v9, v8, v9
	v_add_u32_e32 v8, v8, v9
	v_mul_hi_u32 v8, v4, v8
	v_mul_lo_u32 v9, v8, s14
	v_add_u32_e32 v10, 1, v8
	v_sub_u32_e32 v9, v4, v9
	v_subrev_u32_e32 v11, s14, v9
	v_cmp_le_u32_e32 vcc, s14, v9
	v_cndmask_b32_e32 v9, v9, v11, vcc
	v_cndmask_b32_e32 v8, v8, v10, vcc
	v_add_u32_e32 v10, 1, v8
	v_cmp_le_u32_e32 vcc, s14, v9
	v_cndmask_b32_e32 v8, v8, v10, vcc
	v_mov_b32_e32 v9, 0
.LBB1_24:
	s_or_b64 exec, exec, s[0:1]
	v_or_b32_e32 v11, s13, v9
	v_mov_b32_e32 v10, 0
	v_cmp_ne_u64_e32 vcc, 0, v[10:11]
                                        ; implicit-def: $vgpr10_vgpr11
	s_and_saveexec_b64 s[0:1], vcc
	s_xor_b64 s[20:21], exec, s[0:1]
	s_cbranch_execz .LBB1_26
; %bb.25:
	s_ashr_i32 s0, s13, 31
	s_add_u32 s2, s12, s0
	s_mov_b32 s1, s0
	s_addc_u32 s3, s13, s0
	s_xor_b64 s[22:23], s[2:3], s[0:1]
	v_cvt_f32_u32_e32 v10, s22
	v_cvt_f32_u32_e32 v11, s23
	s_sub_u32 s2, 0, s22
	s_subb_u32 s3, 0, s23
	v_ashrrev_i32_e32 v16, 31, v9
	v_madmk_f32 v10, v11, 0x4f800000, v10
	v_rcp_f32_e32 v10, v10
	v_mul_f32_e32 v10, 0x5f7ffffc, v10
	v_mul_f32_e32 v11, 0x2f800000, v10
	v_trunc_f32_e32 v11, v11
	v_madmk_f32 v10, v11, 0xcf800000, v10
	v_cvt_u32_f32_e32 v11, v11
	v_cvt_u32_f32_e32 v10, v10
	v_readfirstlane_b32 s6, v11
	v_readfirstlane_b32 s0, v10
	s_mul_i32 s1, s2, s6
	s_mul_hi_u32 s13, s2, s0
	s_mul_i32 s9, s3, s0
	s_add_i32 s1, s13, s1
	s_add_i32 s1, s1, s9
	s_mul_i32 s24, s2, s0
	s_mul_i32 s13, s0, s1
	s_mul_hi_u32 s25, s0, s24
	s_mul_hi_u32 s9, s0, s1
	s_add_u32 s13, s25, s13
	s_addc_u32 s9, 0, s9
	s_mul_hi_u32 s26, s6, s24
	s_mul_i32 s24, s6, s24
	s_add_u32 s13, s13, s24
	s_mul_hi_u32 s25, s6, s1
	s_addc_u32 s9, s9, s26
	s_addc_u32 s13, s25, 0
	s_mul_i32 s1, s6, s1
	s_add_u32 s1, s9, s1
	s_addc_u32 s9, 0, s13
	s_add_u32 s13, s0, s1
	s_cselect_b64 s[0:1], -1, 0
	s_cmp_lg_u64 s[0:1], 0
	s_addc_u32 s6, s6, s9
	s_mul_i32 s0, s2, s6
	s_mul_hi_u32 s1, s2, s13
	s_add_i32 s0, s1, s0
	s_mul_i32 s3, s3, s13
	s_add_i32 s0, s0, s3
	s_mul_i32 s2, s2, s13
	s_mul_hi_u32 s3, s6, s2
	s_mul_i32 s9, s6, s2
	s_mul_i32 s25, s13, s0
	s_mul_hi_u32 s2, s13, s2
	s_mul_hi_u32 s24, s13, s0
	s_add_u32 s2, s2, s25
	s_addc_u32 s24, 0, s24
	s_add_u32 s2, s2, s9
	s_mul_hi_u32 s1, s6, s0
	s_addc_u32 s2, s24, s3
	s_addc_u32 s1, s1, 0
	s_mul_i32 s0, s6, s0
	s_add_u32 s0, s2, s0
	s_addc_u32 s2, 0, s1
	s_add_u32 s3, s13, s0
	s_cselect_b64 s[0:1], -1, 0
	s_cmp_lg_u64 s[0:1], 0
	v_add_co_u32_e32 v10, vcc, v8, v16
	s_addc_u32 s2, s6, s2
	v_xor_b32_e32 v17, v10, v16
	v_mad_u64_u32 v[10:11], s[0:1], v17, s2, 0
	v_mul_hi_u32 v15, v17, s3
	v_addc_co_u32_e32 v14, vcc, v9, v16, vcc
	v_xor_b32_e32 v18, v14, v16
	v_add_co_u32_e32 v19, vcc, v15, v10
	v_addc_co_u32_e32 v20, vcc, 0, v11, vcc
	v_mad_u64_u32 v[10:11], s[0:1], v18, s3, 0
	v_mad_u64_u32 v[14:15], s[0:1], v18, s2, 0
	v_add_co_u32_e32 v10, vcc, v19, v10
	v_addc_co_u32_e32 v10, vcc, v20, v11, vcc
	v_addc_co_u32_e32 v11, vcc, 0, v15, vcc
	v_add_co_u32_e32 v10, vcc, v10, v14
	v_addc_co_u32_e32 v11, vcc, 0, v11, vcc
	v_mul_lo_u32 v14, s23, v10
	v_mul_lo_u32 v15, s22, v11
	v_mad_u64_u32 v[10:11], s[0:1], s22, v10, 0
	v_add3_u32 v11, v11, v15, v14
	v_sub_u32_e32 v14, v18, v11
	v_mov_b32_e32 v15, s23
	v_sub_co_u32_e32 v10, vcc, v17, v10
	v_subb_co_u32_e64 v14, s[0:1], v14, v15, vcc
	v_subrev_co_u32_e64 v17, s[0:1], s22, v10
	v_subbrev_co_u32_e64 v19, s[2:3], 0, v14, s[0:1]
	v_cmp_le_u32_e64 s[2:3], s23, v19
	v_cndmask_b32_e64 v20, 0, -1, s[2:3]
	v_cmp_le_u32_e64 s[2:3], s22, v17
	v_subb_co_u32_e64 v14, s[0:1], v14, v15, s[0:1]
	v_cndmask_b32_e64 v21, 0, -1, s[2:3]
	v_cmp_eq_u32_e64 s[2:3], s23, v19
	v_subrev_co_u32_e64 v15, s[0:1], s22, v17
	v_subb_co_u32_e32 v11, vcc, v18, v11, vcc
	v_cndmask_b32_e64 v20, v20, v21, s[2:3]
	v_subbrev_co_u32_e64 v14, s[0:1], 0, v14, s[0:1]
	v_cmp_le_u32_e32 vcc, s23, v11
	v_cmp_ne_u32_e64 s[0:1], 0, v20
	v_cndmask_b32_e64 v18, 0, -1, vcc
	v_cmp_le_u32_e32 vcc, s22, v10
	v_cndmask_b32_e64 v14, v19, v14, s[0:1]
	v_cndmask_b32_e64 v19, 0, -1, vcc
	v_cmp_eq_u32_e32 vcc, s23, v11
	v_cndmask_b32_e32 v18, v18, v19, vcc
	v_cmp_ne_u32_e32 vcc, 0, v18
	v_cndmask_b32_e32 v11, v11, v14, vcc
	v_cndmask_b32_e64 v14, v17, v15, s[0:1]
	v_cndmask_b32_e32 v10, v10, v14, vcc
	v_xor_b32_e32 v10, v10, v16
	v_xor_b32_e32 v11, v11, v16
	v_sub_co_u32_e32 v10, vcc, v10, v16
	v_subb_co_u32_e32 v11, vcc, v11, v16, vcc
.LBB1_26:
	s_andn2_saveexec_b64 s[0:1], s[20:21]
	s_cbranch_execz .LBB1_28
; %bb.27:
	v_cvt_f32_u32_e32 v10, s12
	s_sub_i32 s2, 0, s12
	v_rcp_iflag_f32_e32 v10, v10
	v_mul_f32_e32 v10, 0x4f7ffffe, v10
	v_cvt_u32_f32_e32 v10, v10
	v_mul_lo_u32 v11, s2, v10
	v_mul_hi_u32 v11, v10, v11
	v_add_u32_e32 v10, v10, v11
	v_mul_hi_u32 v10, v8, v10
	v_mul_lo_u32 v10, v10, s12
	v_sub_u32_e32 v10, v8, v10
	v_subrev_u32_e32 v11, s12, v10
	v_cmp_le_u32_e32 vcc, s12, v10
	v_cndmask_b32_e32 v10, v10, v11, vcc
	v_subrev_u32_e32 v11, s12, v10
	v_cmp_le_u32_e32 vcc, s12, v10
	v_cndmask_b32_e32 v10, v10, v11, vcc
	v_mov_b32_e32 v11, 0
.LBB1_28:
	s_or_b64 exec, exec, s[0:1]
	s_load_dwordx8 s[20:27], s[4:5], 0x30
	v_mul_lo_u32 v14, v9, s14
	v_mul_lo_u32 v15, v8, s15
	v_mad_u64_u32 v[8:9], s[0:1], v8, s14, 0
	s_load_dwordx4 s[0:3], s[4:5], 0x50
	s_load_dwordx2 s[12:13], s[4:5], 0x0
	s_waitcnt lgkmcnt(0)
	s_mul_i32 s6, s21, s8
	s_mul_hi_u32 s9, s20, s8
	s_add_i32 s15, s9, s6
	s_mul_i32 s14, s20, s8
	s_lshl_b64 s[14:15], s[14:15], 2
	v_add3_u32 v9, v9, v15, v14
	v_sub_co_u32_e32 v8, vcc, v4, v8
	s_add_u32 s6, s12, s14
	v_subb_co_u32_e32 v9, vcc, v5, v9, vcc
	s_addc_u32 s9, s13, s15
	s_mul_i32 s12, s23, s7
	s_mul_hi_u32 s13, s22, s7
	v_mul_lo_u32 v14, s25, v6
	v_mul_lo_u32 v7, s24, v7
	v_mad_u64_u32 v[4:5], s[14:15], s24, v6, 0
	s_add_i32 s13, s13, s12
	s_mul_i32 s12, s22, s7
	s_lshl_b64 s[12:13], s[12:13], 2
	s_add_u32 s6, s6, s12
	s_addc_u32 s9, s9, s13
	v_add3_u32 v5, v5, v7, v14
	v_mul_lo_u32 v15, s27, v10
	v_mul_lo_u32 v11, s26, v11
	v_mad_u64_u32 v[6:7], s[12:13], s26, v10, 0
	s_load_dwordx8 s[20:27], s[4:5], 0x88
	v_lshlrev_b64 v[4:5], 2, v[4:5]
	v_mov_b32_e32 v14, s9
	v_add_co_u32_e32 v10, vcc, s6, v4
	v_add3_u32 v7, v7, v11, v15
	v_addc_co_u32_e32 v14, vcc, v14, v5, vcc
	v_lshlrev_b64 v[4:5], 2, v[6:7]
	v_mul_lo_u32 v11, s1, v8
	v_mul_lo_u32 v9, s0, v9
	v_mad_u64_u32 v[6:7], s[0:1], s0, v8, 0
	s_load_dwordx2 s[0:1], s[4:5], 0xa8
	s_waitcnt lgkmcnt(0)
	s_mul_i32 s4, s21, s8
	s_mul_hi_u32 s5, s20, s8
	s_add_i32 s5, s5, s4
	s_mul_i32 s4, s20, s8
	s_lshl_b64 s[4:5], s[4:5], 2
	s_add_u32 s6, s2, s4
	v_add_co_u32_e32 v8, vcc, v10, v4
	v_add3_u32 v7, v7, v9, v11
	s_addc_u32 s8, s3, s5
	s_mul_i32 s2, s23, s7
	s_mul_hi_u32 s3, s22, s7
	v_addc_co_u32_e32 v10, vcc, v14, v5, vcc
	v_lshlrev_b64 v[4:5], 2, v[6:7]
	s_add_i32 s3, s3, s2
	s_mul_i32 s2, s22, s7
	v_mul_lo_u32 v6, s25, v2
	v_mul_lo_u32 v7, s24, v3
	v_mad_u64_u32 v[2:3], s[4:5], s24, v2, 0
	s_lshl_b64 s[2:3], s[2:3], 2
	s_add_u32 s4, s6, s2
	s_addc_u32 s2, s8, s3
	v_add_co_u32_e32 v4, vcc, v8, v4
	v_add3_u32 v3, v3, v7, v6
	v_mov_b32_e32 v6, s2
	v_mul_lo_u32 v7, s27, v0
	v_mul_lo_u32 v8, s26, v1
	v_mad_u64_u32 v[0:1], s[2:3], s26, v0, 0
	v_lshlrev_b64 v[2:3], 2, v[2:3]
	v_addc_co_u32_e32 v5, vcc, v10, v5, vcc
	v_add_co_u32_e32 v9, vcc, s4, v2
	v_addc_co_u32_e32 v6, vcc, v6, v3, vcc
	v_add3_u32 v1, v1, v8, v7
	v_mul_lo_u32 v7, s1, v12
	v_mul_lo_u32 v8, s0, v13
	v_mad_u64_u32 v[2:3], s[0:1], s0, v12, 0
	v_lshlrev_b64 v[0:1], 2, v[0:1]
	s_mov_b64 s[0:1], 0
	v_add_co_u32_e32 v9, vcc, v9, v0
	v_add3_u32 v3, v3, v8, v7
	v_addc_co_u32_e32 v10, vcc, v6, v1, vcc
	v_lshlrev_b64 v[0:1], 2, v[2:3]
	v_add_co_u32_e32 v6, vcc, v9, v0
	v_addc_co_u32_e32 v7, vcc, v10, v1, vcc
	global_load_dword v2, v[6:7], off
	global_load_dword v1, v[4:5], off
.LBB1_29:                               ; =>This Inner Loop Header: Depth=1
	s_waitcnt vmcnt(0)
	v_add_f32_e32 v0, v1, v2
	global_atomic_cmpswap v0, v[4:5], v[0:1], off glc
	s_waitcnt vmcnt(0)
	v_cmp_eq_u32_e32 vcc, v0, v1
	s_or_b64 s[0:1], vcc, s[0:1]
	v_mov_b32_e32 v1, v0
	s_andn2_b64 exec, exec, s[0:1]
	s_cbranch_execnz .LBB1_29
; %bb.30:
	s_or_b64 exec, exec, s[0:1]
.LBB1_31:
	s_or_b64 exec, exec, s[18:19]
	s_and_b64 s[0:1], s[16:17], exec
.LBB1_32:
	s_andn2_saveexec_b64 s[2:3], s[10:11]
	s_cbranch_execnz .LBB1_36
; %bb.33:
	s_or_b64 exec, exec, s[2:3]
	s_and_b64 exec, exec, s[0:1]
.LBB1_34:
	; divergent unreachable
.LBB1_35:
	s_endpgm
.LBB1_36:
	s_or_b64 s[0:1], s[0:1], exec
	s_trap 2
	s_or_b64 exec, exec, s[2:3]
	s_and_b64 exec, exec, s[0:1]
	s_cbranch_execnz .LBB1_34
	s_branch .LBB1_35
.LBB1_37:
	s_mov_b64 s[16:17], exec
	s_trap 2
                                        ; implicit-def: $vgpr4_vgpr5
                                        ; implicit-def: $vgpr6_vgpr7
                                        ; implicit-def: $vgpr2_vgpr3
                                        ; implicit-def: $vgpr0_vgpr1
                                        ; implicit-def: $vgpr12
                                        ; implicit-def: $vgpr13
	s_andn2_saveexec_b64 s[18:19], s[0:1]
	s_cbranch_execnz .LBB1_20
	s_branch .LBB1_31
	.section	.rodata,"a",@progbits
	.p2align	6, 0x0
	.amdhsa_kernel _ZN2at6native12_GLOBAL__N_140fractional_max_pool3d_backward_out_frameIfEEvN5torch10headeronly6detail27GenericPackedTensorAccessorINS5_14TensorAccessorIN3c108ArrayRefIlEET_Lm4ENS4_16DefaultPtrTraitsElEENS_6detail16IndexBoundsCheckILm5ElEESB_Lm5ESC_lEENS6_INS7_ISA_KSB_Lm4ESC_lEESG_SI_Lm5ESC_lEENS6_INS7_ISA_KlLm4ESC_lEESG_SL_Lm5ESC_lEE
		.amdhsa_group_segment_fixed_size 0
		.amdhsa_private_segment_fixed_size 0
		.amdhsa_kernarg_size 520
		.amdhsa_user_sgpr_count 6
		.amdhsa_user_sgpr_private_segment_buffer 1
		.amdhsa_user_sgpr_dispatch_ptr 0
		.amdhsa_user_sgpr_queue_ptr 0
		.amdhsa_user_sgpr_kernarg_segment_ptr 1
		.amdhsa_user_sgpr_dispatch_id 0
		.amdhsa_user_sgpr_flat_scratch_init 0
		.amdhsa_user_sgpr_private_segment_size 0
		.amdhsa_uses_dynamic_stack 0
		.amdhsa_system_sgpr_private_segment_wavefront_offset 0
		.amdhsa_system_sgpr_workgroup_id_x 1
		.amdhsa_system_sgpr_workgroup_id_y 1
		.amdhsa_system_sgpr_workgroup_id_z 1
		.amdhsa_system_sgpr_workgroup_info 0
		.amdhsa_system_vgpr_workitem_id 0
		.amdhsa_next_free_vgpr 22
		.amdhsa_next_free_sgpr 29
		.amdhsa_reserve_vcc 1
		.amdhsa_reserve_flat_scratch 0
		.amdhsa_float_round_mode_32 0
		.amdhsa_float_round_mode_16_64 0
		.amdhsa_float_denorm_mode_32 3
		.amdhsa_float_denorm_mode_16_64 3
		.amdhsa_dx10_clamp 1
		.amdhsa_ieee_mode 1
		.amdhsa_fp16_overflow 0
		.amdhsa_exception_fp_ieee_invalid_op 0
		.amdhsa_exception_fp_denorm_src 0
		.amdhsa_exception_fp_ieee_div_zero 0
		.amdhsa_exception_fp_ieee_overflow 0
		.amdhsa_exception_fp_ieee_underflow 0
		.amdhsa_exception_fp_ieee_inexact 0
		.amdhsa_exception_int_div_zero 0
	.end_amdhsa_kernel
	.section	.text._ZN2at6native12_GLOBAL__N_140fractional_max_pool3d_backward_out_frameIfEEvN5torch10headeronly6detail27GenericPackedTensorAccessorINS5_14TensorAccessorIN3c108ArrayRefIlEET_Lm4ENS4_16DefaultPtrTraitsElEENS_6detail16IndexBoundsCheckILm5ElEESB_Lm5ESC_lEENS6_INS7_ISA_KSB_Lm4ESC_lEESG_SI_Lm5ESC_lEENS6_INS7_ISA_KlLm4ESC_lEESG_SL_Lm5ESC_lEE,"axG",@progbits,_ZN2at6native12_GLOBAL__N_140fractional_max_pool3d_backward_out_frameIfEEvN5torch10headeronly6detail27GenericPackedTensorAccessorINS5_14TensorAccessorIN3c108ArrayRefIlEET_Lm4ENS4_16DefaultPtrTraitsElEENS_6detail16IndexBoundsCheckILm5ElEESB_Lm5ESC_lEENS6_INS7_ISA_KSB_Lm4ESC_lEESG_SI_Lm5ESC_lEENS6_INS7_ISA_KlLm4ESC_lEESG_SL_Lm5ESC_lEE,comdat
.Lfunc_end1:
	.size	_ZN2at6native12_GLOBAL__N_140fractional_max_pool3d_backward_out_frameIfEEvN5torch10headeronly6detail27GenericPackedTensorAccessorINS5_14TensorAccessorIN3c108ArrayRefIlEET_Lm4ENS4_16DefaultPtrTraitsElEENS_6detail16IndexBoundsCheckILm5ElEESB_Lm5ESC_lEENS6_INS7_ISA_KSB_Lm4ESC_lEESG_SI_Lm5ESC_lEENS6_INS7_ISA_KlLm4ESC_lEESG_SL_Lm5ESC_lEE, .Lfunc_end1-_ZN2at6native12_GLOBAL__N_140fractional_max_pool3d_backward_out_frameIfEEvN5torch10headeronly6detail27GenericPackedTensorAccessorINS5_14TensorAccessorIN3c108ArrayRefIlEET_Lm4ENS4_16DefaultPtrTraitsElEENS_6detail16IndexBoundsCheckILm5ElEESB_Lm5ESC_lEENS6_INS7_ISA_KSB_Lm4ESC_lEESG_SI_Lm5ESC_lEENS6_INS7_ISA_KlLm4ESC_lEESG_SL_Lm5ESC_lEE
                                        ; -- End function
	.set _ZN2at6native12_GLOBAL__N_140fractional_max_pool3d_backward_out_frameIfEEvN5torch10headeronly6detail27GenericPackedTensorAccessorINS5_14TensorAccessorIN3c108ArrayRefIlEET_Lm4ENS4_16DefaultPtrTraitsElEENS_6detail16IndexBoundsCheckILm5ElEESB_Lm5ESC_lEENS6_INS7_ISA_KSB_Lm4ESC_lEESG_SI_Lm5ESC_lEENS6_INS7_ISA_KlLm4ESC_lEESG_SL_Lm5ESC_lEE.num_vgpr, 22
	.set _ZN2at6native12_GLOBAL__N_140fractional_max_pool3d_backward_out_frameIfEEvN5torch10headeronly6detail27GenericPackedTensorAccessorINS5_14TensorAccessorIN3c108ArrayRefIlEET_Lm4ENS4_16DefaultPtrTraitsElEENS_6detail16IndexBoundsCheckILm5ElEESB_Lm5ESC_lEENS6_INS7_ISA_KSB_Lm4ESC_lEESG_SI_Lm5ESC_lEENS6_INS7_ISA_KlLm4ESC_lEESG_SL_Lm5ESC_lEE.num_agpr, 0
	.set _ZN2at6native12_GLOBAL__N_140fractional_max_pool3d_backward_out_frameIfEEvN5torch10headeronly6detail27GenericPackedTensorAccessorINS5_14TensorAccessorIN3c108ArrayRefIlEET_Lm4ENS4_16DefaultPtrTraitsElEENS_6detail16IndexBoundsCheckILm5ElEESB_Lm5ESC_lEENS6_INS7_ISA_KSB_Lm4ESC_lEESG_SI_Lm5ESC_lEENS6_INS7_ISA_KlLm4ESC_lEESG_SL_Lm5ESC_lEE.numbered_sgpr, 29
	.set _ZN2at6native12_GLOBAL__N_140fractional_max_pool3d_backward_out_frameIfEEvN5torch10headeronly6detail27GenericPackedTensorAccessorINS5_14TensorAccessorIN3c108ArrayRefIlEET_Lm4ENS4_16DefaultPtrTraitsElEENS_6detail16IndexBoundsCheckILm5ElEESB_Lm5ESC_lEENS6_INS7_ISA_KSB_Lm4ESC_lEESG_SI_Lm5ESC_lEENS6_INS7_ISA_KlLm4ESC_lEESG_SL_Lm5ESC_lEE.num_named_barrier, 0
	.set _ZN2at6native12_GLOBAL__N_140fractional_max_pool3d_backward_out_frameIfEEvN5torch10headeronly6detail27GenericPackedTensorAccessorINS5_14TensorAccessorIN3c108ArrayRefIlEET_Lm4ENS4_16DefaultPtrTraitsElEENS_6detail16IndexBoundsCheckILm5ElEESB_Lm5ESC_lEENS6_INS7_ISA_KSB_Lm4ESC_lEESG_SI_Lm5ESC_lEENS6_INS7_ISA_KlLm4ESC_lEESG_SL_Lm5ESC_lEE.private_seg_size, 0
	.set _ZN2at6native12_GLOBAL__N_140fractional_max_pool3d_backward_out_frameIfEEvN5torch10headeronly6detail27GenericPackedTensorAccessorINS5_14TensorAccessorIN3c108ArrayRefIlEET_Lm4ENS4_16DefaultPtrTraitsElEENS_6detail16IndexBoundsCheckILm5ElEESB_Lm5ESC_lEENS6_INS7_ISA_KSB_Lm4ESC_lEESG_SI_Lm5ESC_lEENS6_INS7_ISA_KlLm4ESC_lEESG_SL_Lm5ESC_lEE.uses_vcc, 1
	.set _ZN2at6native12_GLOBAL__N_140fractional_max_pool3d_backward_out_frameIfEEvN5torch10headeronly6detail27GenericPackedTensorAccessorINS5_14TensorAccessorIN3c108ArrayRefIlEET_Lm4ENS4_16DefaultPtrTraitsElEENS_6detail16IndexBoundsCheckILm5ElEESB_Lm5ESC_lEENS6_INS7_ISA_KSB_Lm4ESC_lEESG_SI_Lm5ESC_lEENS6_INS7_ISA_KlLm4ESC_lEESG_SL_Lm5ESC_lEE.uses_flat_scratch, 0
	.set _ZN2at6native12_GLOBAL__N_140fractional_max_pool3d_backward_out_frameIfEEvN5torch10headeronly6detail27GenericPackedTensorAccessorINS5_14TensorAccessorIN3c108ArrayRefIlEET_Lm4ENS4_16DefaultPtrTraitsElEENS_6detail16IndexBoundsCheckILm5ElEESB_Lm5ESC_lEENS6_INS7_ISA_KSB_Lm4ESC_lEESG_SI_Lm5ESC_lEENS6_INS7_ISA_KlLm4ESC_lEESG_SL_Lm5ESC_lEE.has_dyn_sized_stack, 0
	.set _ZN2at6native12_GLOBAL__N_140fractional_max_pool3d_backward_out_frameIfEEvN5torch10headeronly6detail27GenericPackedTensorAccessorINS5_14TensorAccessorIN3c108ArrayRefIlEET_Lm4ENS4_16DefaultPtrTraitsElEENS_6detail16IndexBoundsCheckILm5ElEESB_Lm5ESC_lEENS6_INS7_ISA_KSB_Lm4ESC_lEESG_SI_Lm5ESC_lEENS6_INS7_ISA_KlLm4ESC_lEESG_SL_Lm5ESC_lEE.has_recursion, 0
	.set _ZN2at6native12_GLOBAL__N_140fractional_max_pool3d_backward_out_frameIfEEvN5torch10headeronly6detail27GenericPackedTensorAccessorINS5_14TensorAccessorIN3c108ArrayRefIlEET_Lm4ENS4_16DefaultPtrTraitsElEENS_6detail16IndexBoundsCheckILm5ElEESB_Lm5ESC_lEENS6_INS7_ISA_KSB_Lm4ESC_lEESG_SI_Lm5ESC_lEENS6_INS7_ISA_KlLm4ESC_lEESG_SL_Lm5ESC_lEE.has_indirect_call, 0
	.section	.AMDGPU.csdata,"",@progbits
; Kernel info:
; codeLenInByte = 5572
; TotalNumSgprs: 33
; NumVgprs: 22
; ScratchSize: 0
; MemoryBound: 0
; FloatMode: 240
; IeeeMode: 1
; LDSByteSize: 0 bytes/workgroup (compile time only)
; SGPRBlocks: 4
; VGPRBlocks: 5
; NumSGPRsForWavesPerEU: 33
; NumVGPRsForWavesPerEU: 22
; Occupancy: 10
; WaveLimiterHint : 1
; COMPUTE_PGM_RSRC2:SCRATCH_EN: 0
; COMPUTE_PGM_RSRC2:USER_SGPR: 6
; COMPUTE_PGM_RSRC2:TRAP_HANDLER: 0
; COMPUTE_PGM_RSRC2:TGID_X_EN: 1
; COMPUTE_PGM_RSRC2:TGID_Y_EN: 1
; COMPUTE_PGM_RSRC2:TGID_Z_EN: 1
; COMPUTE_PGM_RSRC2:TIDIG_COMP_CNT: 0
	.section	.text._ZN2at6native12_GLOBAL__N_140fractional_max_pool3d_backward_out_frameIN3c104HalfEEEvN5torch10headeronly6detail27GenericPackedTensorAccessorINS7_14TensorAccessorINS3_8ArrayRefIlEET_Lm4ENS6_16DefaultPtrTraitsElEENS_6detail16IndexBoundsCheckILm5ElEESC_Lm5ESD_lEENS8_INS9_ISB_KSC_Lm4ESD_lEESH_SJ_Lm5ESD_lEENS8_INS9_ISB_KlLm4ESD_lEESH_SM_Lm5ESD_lEE,"axG",@progbits,_ZN2at6native12_GLOBAL__N_140fractional_max_pool3d_backward_out_frameIN3c104HalfEEEvN5torch10headeronly6detail27GenericPackedTensorAccessorINS7_14TensorAccessorINS3_8ArrayRefIlEET_Lm4ENS6_16DefaultPtrTraitsElEENS_6detail16IndexBoundsCheckILm5ElEESC_Lm5ESD_lEENS8_INS9_ISB_KSC_Lm4ESD_lEESH_SJ_Lm5ESD_lEENS8_INS9_ISB_KlLm4ESD_lEESH_SM_Lm5ESD_lEE,comdat
	.globl	_ZN2at6native12_GLOBAL__N_140fractional_max_pool3d_backward_out_frameIN3c104HalfEEEvN5torch10headeronly6detail27GenericPackedTensorAccessorINS7_14TensorAccessorINS3_8ArrayRefIlEET_Lm4ENS6_16DefaultPtrTraitsElEENS_6detail16IndexBoundsCheckILm5ElEESC_Lm5ESD_lEENS8_INS9_ISB_KSC_Lm4ESD_lEESH_SJ_Lm5ESD_lEENS8_INS9_ISB_KlLm4ESD_lEESH_SM_Lm5ESD_lEE ; -- Begin function _ZN2at6native12_GLOBAL__N_140fractional_max_pool3d_backward_out_frameIN3c104HalfEEEvN5torch10headeronly6detail27GenericPackedTensorAccessorINS7_14TensorAccessorINS3_8ArrayRefIlEET_Lm4ENS6_16DefaultPtrTraitsElEENS_6detail16IndexBoundsCheckILm5ElEESC_Lm5ESD_lEENS8_INS9_ISB_KSC_Lm4ESD_lEESH_SJ_Lm5ESD_lEENS8_INS9_ISB_KlLm4ESD_lEESH_SM_Lm5ESD_lEE
	.p2align	8
	.type	_ZN2at6native12_GLOBAL__N_140fractional_max_pool3d_backward_out_frameIN3c104HalfEEEvN5torch10headeronly6detail27GenericPackedTensorAccessorINS7_14TensorAccessorINS3_8ArrayRefIlEET_Lm4ENS6_16DefaultPtrTraitsElEENS_6detail16IndexBoundsCheckILm5ElEESC_Lm5ESD_lEENS8_INS9_ISB_KSC_Lm4ESD_lEESH_SJ_Lm5ESD_lEENS8_INS9_ISB_KlLm4ESD_lEESH_SM_Lm5ESD_lEE,@function
_ZN2at6native12_GLOBAL__N_140fractional_max_pool3d_backward_out_frameIN3c104HalfEEEvN5torch10headeronly6detail27GenericPackedTensorAccessorINS7_14TensorAccessorINS3_8ArrayRefIlEET_Lm4ENS6_16DefaultPtrTraitsElEENS_6detail16IndexBoundsCheckILm5ElEESC_Lm5ESD_lEENS8_INS9_ISB_KSC_Lm4ESD_lEESH_SJ_Lm5ESD_lEENS8_INS9_ISB_KlLm4ESD_lEESH_SM_Lm5ESD_lEE: ; @_ZN2at6native12_GLOBAL__N_140fractional_max_pool3d_backward_out_frameIN3c104HalfEEEvN5torch10headeronly6detail27GenericPackedTensorAccessorINS7_14TensorAccessorINS3_8ArrayRefIlEET_Lm4ENS6_16DefaultPtrTraitsElEENS_6detail16IndexBoundsCheckILm5ElEESC_Lm5ESD_lEENS8_INS9_ISB_KSC_Lm4ESD_lEESH_SJ_Lm5ESD_lEENS8_INS9_ISB_KlLm4ESD_lEESH_SM_Lm5ESD_lEE
; %bb.0:
	s_load_dword s0, s[4:5], 0x114
	s_load_dwordx4 s[12:15], s[4:5], 0x70
	s_load_dwordx2 s[10:11], s[4:5], 0x80
	v_mov_b32_e32 v2, 0
	v_mov_b32_e32 v1, v2
	;; [unrolled: 1-line block ×3, first 2 shown]
	s_waitcnt lgkmcnt(0)
	s_and_b32 s0, s0, 0xffff
	v_mad_u64_u32 v[4:5], s[0:1], s0, v3, v[0:1]
	s_mul_i32 s0, s10, s15
	s_mul_hi_u32 s1, s10, s14
	s_add_i32 s9, s1, s0
	s_mul_i32 s0, s11, s14
	s_mul_i32 s6, s10, s14
	s_add_i32 s9, s9, s0
	s_mul_i32 s0, s6, s13
	s_mul_hi_u32 s1, s6, s12
	s_add_i32 s0, s1, s0
	s_mul_i32 s1, s9, s12
	s_add_i32 s1, s0, s1
	s_mul_i32 s0, s6, s12
	v_cmp_gt_i64_e32 vcc, s[0:1], v[4:5]
	s_and_saveexec_b64 s[0:1], vcc
	s_cbranch_execz .LBB2_39
; %bb.1:
	v_or_b32_e32 v3, s11, v5
	v_cmp_ne_u64_e32 vcc, 0, v[2:3]
                                        ; implicit-def: $vgpr6_vgpr7
	s_and_saveexec_b64 s[0:1], vcc
	s_xor_b64 s[2:3], exec, s[0:1]
	s_cbranch_execz .LBB2_3
; %bb.2:
	s_ashr_i32 s12, s11, 31
	s_add_u32 s0, s10, s12
	s_mov_b32 s13, s12
	s_addc_u32 s1, s11, s12
	s_xor_b64 s[16:17], s[0:1], s[12:13]
	v_cvt_f32_u32_e32 v0, s16
	v_cvt_f32_u32_e32 v1, s17
	s_sub_u32 s13, 0, s16
	s_subb_u32 s18, 0, s17
	v_ashrrev_i32_e32 v6, 31, v5
	v_madmk_f32 v0, v1, 0x4f800000, v0
	v_rcp_f32_e32 v0, v0
	v_mul_f32_e32 v0, 0x5f7ffffc, v0
	v_mul_f32_e32 v1, 0x2f800000, v0
	v_trunc_f32_e32 v1, v1
	v_madmk_f32 v0, v1, 0xcf800000, v0
	v_cvt_u32_f32_e32 v1, v1
	v_cvt_u32_f32_e32 v0, v0
	v_readfirstlane_b32 s19, v1
	v_readfirstlane_b32 s0, v0
	s_mul_i32 s1, s13, s19
	s_mul_hi_u32 s21, s13, s0
	s_mul_i32 s20, s18, s0
	s_add_i32 s1, s21, s1
	s_add_i32 s1, s1, s20
	s_mul_i32 s22, s13, s0
	s_mul_i32 s21, s0, s1
	s_mul_hi_u32 s23, s0, s22
	s_mul_hi_u32 s20, s0, s1
	s_add_u32 s21, s23, s21
	s_addc_u32 s20, 0, s20
	s_mul_hi_u32 s24, s19, s22
	s_mul_i32 s22, s19, s22
	s_add_u32 s21, s21, s22
	s_mul_hi_u32 s23, s19, s1
	s_addc_u32 s20, s20, s24
	s_addc_u32 s21, s23, 0
	s_mul_i32 s1, s19, s1
	s_add_u32 s1, s20, s1
	s_addc_u32 s20, 0, s21
	s_add_u32 s21, s0, s1
	s_cselect_b64 s[0:1], -1, 0
	s_cmp_lg_u64 s[0:1], 0
	s_addc_u32 s19, s19, s20
	s_mul_i32 s0, s13, s19
	s_mul_hi_u32 s1, s13, s21
	s_add_i32 s0, s1, s0
	s_mul_i32 s18, s18, s21
	s_add_i32 s0, s0, s18
	s_mul_i32 s13, s13, s21
	s_mul_hi_u32 s18, s19, s13
	s_mul_i32 s20, s19, s13
	s_mul_i32 s23, s21, s0
	s_mul_hi_u32 s13, s21, s13
	s_mul_hi_u32 s22, s21, s0
	s_add_u32 s13, s13, s23
	s_addc_u32 s22, 0, s22
	s_add_u32 s13, s13, s20
	s_mul_hi_u32 s1, s19, s0
	s_addc_u32 s13, s22, s18
	s_addc_u32 s1, s1, 0
	s_mul_i32 s0, s19, s0
	s_add_u32 s0, s13, s0
	s_addc_u32 s13, 0, s1
	s_add_u32 s18, s21, s0
	s_cselect_b64 s[0:1], -1, 0
	s_cmp_lg_u64 s[0:1], 0
	v_add_co_u32_e32 v0, vcc, v4, v6
	s_addc_u32 s13, s19, s13
	v_xor_b32_e32 v7, v0, v6
	v_mad_u64_u32 v[0:1], s[0:1], v7, s13, 0
	v_mul_hi_u32 v3, v7, s18
	v_addc_co_u32_e32 v2, vcc, v5, v6, vcc
	v_xor_b32_e32 v8, v2, v6
	v_add_co_u32_e32 v9, vcc, v3, v0
	v_addc_co_u32_e32 v10, vcc, 0, v1, vcc
	v_mad_u64_u32 v[0:1], s[0:1], v8, s18, 0
	v_mad_u64_u32 v[2:3], s[0:1], v8, s13, 0
	v_add_co_u32_e32 v0, vcc, v9, v0
	v_addc_co_u32_e32 v0, vcc, v10, v1, vcc
	v_addc_co_u32_e32 v1, vcc, 0, v3, vcc
	v_add_co_u32_e32 v2, vcc, v0, v2
	v_addc_co_u32_e32 v3, vcc, 0, v1, vcc
	v_mul_lo_u32 v9, s17, v2
	v_mul_lo_u32 v10, s16, v3
	v_mad_u64_u32 v[0:1], s[0:1], s16, v2, 0
	v_add3_u32 v1, v1, v10, v9
	v_sub_u32_e32 v9, v8, v1
	v_mov_b32_e32 v10, s17
	v_sub_co_u32_e32 v0, vcc, v7, v0
	v_subb_co_u32_e64 v7, s[0:1], v9, v10, vcc
	v_subrev_co_u32_e64 v9, s[0:1], s16, v0
	v_subbrev_co_u32_e64 v7, s[0:1], 0, v7, s[0:1]
	v_cmp_le_u32_e64 s[0:1], s17, v7
	v_cndmask_b32_e64 v10, 0, -1, s[0:1]
	v_cmp_le_u32_e64 s[0:1], s16, v9
	v_cndmask_b32_e64 v9, 0, -1, s[0:1]
	v_cmp_eq_u32_e64 s[0:1], s17, v7
	v_cndmask_b32_e64 v7, v10, v9, s[0:1]
	v_add_co_u32_e64 v9, s[0:1], 2, v2
	v_subb_co_u32_e32 v1, vcc, v8, v1, vcc
	v_addc_co_u32_e64 v10, s[0:1], 0, v3, s[0:1]
	v_cmp_le_u32_e32 vcc, s17, v1
	v_add_co_u32_e64 v11, s[0:1], 1, v2
	v_cndmask_b32_e64 v8, 0, -1, vcc
	v_cmp_le_u32_e32 vcc, s16, v0
	v_addc_co_u32_e64 v12, s[0:1], 0, v3, s[0:1]
	v_cndmask_b32_e64 v0, 0, -1, vcc
	v_cmp_eq_u32_e32 vcc, s17, v1
	v_cmp_ne_u32_e64 s[0:1], 0, v7
	v_cndmask_b32_e32 v0, v8, v0, vcc
	v_cmp_ne_u32_e32 vcc, 0, v0
	v_cndmask_b32_e64 v1, v11, v9, s[0:1]
	v_cndmask_b32_e64 v7, v12, v10, s[0:1]
	v_cndmask_b32_e32 v1, v2, v1, vcc
	v_xor_b32_e32 v2, s12, v6
	v_cndmask_b32_e32 v0, v3, v7, vcc
	v_xor_b32_e32 v1, v1, v2
	v_xor_b32_e32 v0, v0, v2
	v_sub_co_u32_e32 v6, vcc, v1, v2
	v_subb_co_u32_e32 v7, vcc, v0, v2, vcc
.LBB2_3:
	s_andn2_saveexec_b64 s[0:1], s[2:3]
	s_cbranch_execz .LBB2_5
; %bb.4:
	v_cvt_f32_u32_e32 v0, s10
	s_sub_i32 s2, 0, s10
	v_mov_b32_e32 v7, 0
	v_rcp_iflag_f32_e32 v0, v0
	v_mul_f32_e32 v0, 0x4f7ffffe, v0
	v_cvt_u32_f32_e32 v0, v0
	v_mul_lo_u32 v1, s2, v0
	v_mul_hi_u32 v1, v0, v1
	v_add_u32_e32 v0, v0, v1
	v_mul_hi_u32 v0, v4, v0
	v_mul_lo_u32 v1, v0, s10
	v_add_u32_e32 v2, 1, v0
	v_sub_u32_e32 v1, v4, v1
	v_subrev_u32_e32 v3, s10, v1
	v_cmp_le_u32_e32 vcc, s10, v1
	v_cndmask_b32_e32 v1, v1, v3, vcc
	v_cndmask_b32_e32 v0, v0, v2, vcc
	v_add_u32_e32 v2, 1, v0
	v_cmp_le_u32_e32 vcc, s10, v1
	v_cndmask_b32_e32 v6, v0, v2, vcc
.LBB2_5:
	s_or_b64 exec, exec, s[0:1]
	v_or_b32_e32 v1, s15, v7
	v_mov_b32_e32 v0, 0
	v_cmp_ne_u64_e32 vcc, 0, v[0:1]
                                        ; implicit-def: $vgpr0_vgpr1
	s_and_saveexec_b64 s[0:1], vcc
	s_xor_b64 s[12:13], exec, s[0:1]
	s_cbranch_execz .LBB2_7
; %bb.6:
	s_ashr_i32 s0, s15, 31
	s_add_u32 s2, s14, s0
	s_mov_b32 s1, s0
	s_addc_u32 s3, s15, s0
	s_xor_b64 s[16:17], s[2:3], s[0:1]
	v_cvt_f32_u32_e32 v0, s16
	v_cvt_f32_u32_e32 v1, s17
	s_sub_u32 s2, 0, s16
	s_subb_u32 s3, 0, s17
	v_ashrrev_i32_e32 v8, 31, v7
	v_madmk_f32 v0, v1, 0x4f800000, v0
	v_rcp_f32_e32 v0, v0
	v_mul_f32_e32 v0, 0x5f7ffffc, v0
	v_mul_f32_e32 v1, 0x2f800000, v0
	v_trunc_f32_e32 v1, v1
	v_madmk_f32 v0, v1, 0xcf800000, v0
	v_cvt_u32_f32_e32 v1, v1
	v_cvt_u32_f32_e32 v0, v0
	v_readfirstlane_b32 s15, v1
	v_readfirstlane_b32 s0, v0
	s_mul_i32 s1, s2, s15
	s_mul_hi_u32 s19, s2, s0
	s_mul_i32 s18, s3, s0
	s_add_i32 s1, s19, s1
	s_add_i32 s1, s1, s18
	s_mul_i32 s20, s2, s0
	s_mul_i32 s19, s0, s1
	s_mul_hi_u32 s21, s0, s20
	s_mul_hi_u32 s18, s0, s1
	s_add_u32 s19, s21, s19
	s_addc_u32 s18, 0, s18
	s_mul_hi_u32 s22, s15, s20
	s_mul_i32 s20, s15, s20
	s_add_u32 s19, s19, s20
	s_mul_hi_u32 s21, s15, s1
	s_addc_u32 s18, s18, s22
	s_addc_u32 s19, s21, 0
	s_mul_i32 s1, s15, s1
	s_add_u32 s1, s18, s1
	s_addc_u32 s18, 0, s19
	s_add_u32 s19, s0, s1
	s_cselect_b64 s[0:1], -1, 0
	s_cmp_lg_u64 s[0:1], 0
	s_addc_u32 s15, s15, s18
	s_mul_i32 s0, s2, s15
	s_mul_hi_u32 s1, s2, s19
	s_add_i32 s0, s1, s0
	s_mul_i32 s3, s3, s19
	s_add_i32 s0, s0, s3
	s_mul_i32 s2, s2, s19
	s_mul_hi_u32 s3, s15, s2
	s_mul_i32 s18, s15, s2
	s_mul_i32 s21, s19, s0
	s_mul_hi_u32 s2, s19, s2
	s_mul_hi_u32 s20, s19, s0
	s_add_u32 s2, s2, s21
	s_addc_u32 s20, 0, s20
	s_add_u32 s2, s2, s18
	s_mul_hi_u32 s1, s15, s0
	s_addc_u32 s2, s20, s3
	s_addc_u32 s1, s1, 0
	s_mul_i32 s0, s15, s0
	s_add_u32 s0, s2, s0
	s_addc_u32 s2, 0, s1
	s_add_u32 s3, s19, s0
	s_cselect_b64 s[0:1], -1, 0
	s_cmp_lg_u64 s[0:1], 0
	v_add_co_u32_e32 v0, vcc, v6, v8
	s_addc_u32 s2, s15, s2
	v_xor_b32_e32 v9, v0, v8
	v_mad_u64_u32 v[0:1], s[0:1], v9, s2, 0
	v_mul_hi_u32 v3, v9, s3
	v_addc_co_u32_e32 v2, vcc, v7, v8, vcc
	v_xor_b32_e32 v10, v2, v8
	v_add_co_u32_e32 v11, vcc, v3, v0
	v_addc_co_u32_e32 v12, vcc, 0, v1, vcc
	v_mad_u64_u32 v[0:1], s[0:1], v10, s3, 0
	v_mad_u64_u32 v[2:3], s[0:1], v10, s2, 0
	v_add_co_u32_e32 v0, vcc, v11, v0
	v_addc_co_u32_e32 v0, vcc, v12, v1, vcc
	v_addc_co_u32_e32 v1, vcc, 0, v3, vcc
	v_add_co_u32_e32 v0, vcc, v0, v2
	v_addc_co_u32_e32 v1, vcc, 0, v1, vcc
	v_mul_lo_u32 v2, s17, v0
	v_mul_lo_u32 v3, s16, v1
	v_mad_u64_u32 v[0:1], s[0:1], s16, v0, 0
	v_add3_u32 v1, v1, v3, v2
	v_sub_u32_e32 v2, v10, v1
	v_mov_b32_e32 v3, s17
	v_sub_co_u32_e32 v0, vcc, v9, v0
	v_subb_co_u32_e64 v2, s[0:1], v2, v3, vcc
	v_subrev_co_u32_e64 v9, s[0:1], s16, v0
	v_subbrev_co_u32_e64 v11, s[2:3], 0, v2, s[0:1]
	v_cmp_le_u32_e64 s[2:3], s17, v11
	v_cndmask_b32_e64 v12, 0, -1, s[2:3]
	v_cmp_le_u32_e64 s[2:3], s16, v9
	v_subb_co_u32_e64 v2, s[0:1], v2, v3, s[0:1]
	v_cndmask_b32_e64 v13, 0, -1, s[2:3]
	v_cmp_eq_u32_e64 s[2:3], s17, v11
	v_subrev_co_u32_e64 v3, s[0:1], s16, v9
	v_subb_co_u32_e32 v1, vcc, v10, v1, vcc
	v_cndmask_b32_e64 v12, v12, v13, s[2:3]
	v_subbrev_co_u32_e64 v2, s[0:1], 0, v2, s[0:1]
	v_cmp_le_u32_e32 vcc, s17, v1
	v_cmp_ne_u32_e64 s[0:1], 0, v12
	v_cndmask_b32_e64 v10, 0, -1, vcc
	v_cmp_le_u32_e32 vcc, s16, v0
	v_cndmask_b32_e64 v2, v11, v2, s[0:1]
	v_cndmask_b32_e64 v11, 0, -1, vcc
	v_cmp_eq_u32_e32 vcc, s17, v1
	v_cndmask_b32_e32 v10, v10, v11, vcc
	v_cmp_ne_u32_e32 vcc, 0, v10
	v_cndmask_b32_e32 v1, v1, v2, vcc
	v_cndmask_b32_e64 v2, v9, v3, s[0:1]
	v_cndmask_b32_e32 v0, v0, v2, vcc
	v_xor_b32_e32 v0, v0, v8
	v_xor_b32_e32 v1, v1, v8
	v_sub_co_u32_e32 v0, vcc, v0, v8
	v_subb_co_u32_e32 v1, vcc, v1, v8, vcc
.LBB2_7:
	s_andn2_saveexec_b64 s[0:1], s[12:13]
	s_cbranch_execz .LBB2_9
; %bb.8:
	v_cvt_f32_u32_e32 v0, s14
	s_sub_i32 s2, 0, s14
	v_rcp_iflag_f32_e32 v0, v0
	v_mul_f32_e32 v0, 0x4f7ffffe, v0
	v_cvt_u32_f32_e32 v0, v0
	v_mul_lo_u32 v1, s2, v0
	v_mul_hi_u32 v1, v0, v1
	v_add_u32_e32 v0, v0, v1
	v_mul_hi_u32 v0, v6, v0
	v_mul_lo_u32 v0, v0, s14
	v_sub_u32_e32 v0, v6, v0
	v_subrev_u32_e32 v1, s14, v0
	v_cmp_le_u32_e32 vcc, s14, v0
	v_cndmask_b32_e32 v0, v0, v1, vcc
	v_subrev_u32_e32 v1, s14, v0
	v_cmp_le_u32_e32 vcc, s14, v0
	v_cndmask_b32_e32 v0, v0, v1, vcc
	v_mov_b32_e32 v1, 0
.LBB2_9:
	s_or_b64 exec, exec, s[0:1]
	v_or_b32_e32 v3, s9, v5
	v_mov_b32_e32 v2, 0
	v_cmp_ne_u64_e32 vcc, 0, v[2:3]
                                        ; implicit-def: $vgpr2_vgpr3
	s_and_saveexec_b64 s[0:1], vcc
	s_xor_b64 s[2:3], exec, s[0:1]
	s_cbranch_execz .LBB2_11
; %bb.10:
	s_ashr_i32 s12, s9, 31
	s_add_u32 s0, s6, s12
	s_mov_b32 s13, s12
	s_addc_u32 s1, s9, s12
	s_xor_b64 s[14:15], s[0:1], s[12:13]
	v_cvt_f32_u32_e32 v2, s14
	v_cvt_f32_u32_e32 v3, s15
	s_sub_u32 s9, 0, s14
	s_subb_u32 s13, 0, s15
	v_ashrrev_i32_e32 v10, 31, v5
	v_madmk_f32 v2, v3, 0x4f800000, v2
	v_rcp_f32_e32 v2, v2
	v_mul_f32_e32 v2, 0x5f7ffffc, v2
	v_mul_f32_e32 v3, 0x2f800000, v2
	v_trunc_f32_e32 v3, v3
	v_madmk_f32 v2, v3, 0xcf800000, v2
	v_cvt_u32_f32_e32 v3, v3
	v_cvt_u32_f32_e32 v2, v2
	v_readfirstlane_b32 s16, v3
	v_readfirstlane_b32 s0, v2
	s_mul_i32 s1, s9, s16
	s_mul_hi_u32 s18, s9, s0
	s_mul_i32 s17, s13, s0
	s_add_i32 s1, s18, s1
	s_add_i32 s1, s1, s17
	s_mul_i32 s19, s9, s0
	s_mul_i32 s18, s0, s1
	s_mul_hi_u32 s20, s0, s19
	s_mul_hi_u32 s17, s0, s1
	s_add_u32 s18, s20, s18
	s_addc_u32 s17, 0, s17
	s_mul_hi_u32 s21, s16, s19
	s_mul_i32 s19, s16, s19
	s_add_u32 s18, s18, s19
	s_mul_hi_u32 s20, s16, s1
	s_addc_u32 s17, s17, s21
	s_addc_u32 s18, s20, 0
	s_mul_i32 s1, s16, s1
	s_add_u32 s1, s17, s1
	s_addc_u32 s17, 0, s18
	s_add_u32 s18, s0, s1
	s_cselect_b64 s[0:1], -1, 0
	s_cmp_lg_u64 s[0:1], 0
	s_addc_u32 s16, s16, s17
	s_mul_i32 s0, s9, s16
	s_mul_hi_u32 s1, s9, s18
	s_add_i32 s0, s1, s0
	s_mul_i32 s13, s13, s18
	s_add_i32 s0, s0, s13
	s_mul_i32 s9, s9, s18
	s_mul_hi_u32 s13, s16, s9
	s_mul_i32 s17, s16, s9
	s_mul_i32 s20, s18, s0
	s_mul_hi_u32 s9, s18, s9
	s_mul_hi_u32 s19, s18, s0
	s_add_u32 s9, s9, s20
	s_addc_u32 s19, 0, s19
	s_add_u32 s9, s9, s17
	s_mul_hi_u32 s1, s16, s0
	s_addc_u32 s9, s19, s13
	s_addc_u32 s1, s1, 0
	s_mul_i32 s0, s16, s0
	s_add_u32 s0, s9, s0
	s_addc_u32 s9, 0, s1
	s_add_u32 s13, s18, s0
	s_cselect_b64 s[0:1], -1, 0
	s_cmp_lg_u64 s[0:1], 0
	v_add_co_u32_e32 v2, vcc, v4, v10
	s_addc_u32 s9, s16, s9
	v_xor_b32_e32 v11, v2, v10
	v_mad_u64_u32 v[2:3], s[0:1], v11, s9, 0
	v_mul_hi_u32 v9, v11, s13
	v_addc_co_u32_e32 v8, vcc, v5, v10, vcc
	v_xor_b32_e32 v12, v8, v10
	v_add_co_u32_e32 v13, vcc, v9, v2
	v_addc_co_u32_e32 v14, vcc, 0, v3, vcc
	v_mad_u64_u32 v[2:3], s[0:1], v12, s13, 0
	v_mad_u64_u32 v[8:9], s[0:1], v12, s9, 0
	v_add_co_u32_e32 v2, vcc, v13, v2
	v_addc_co_u32_e32 v2, vcc, v14, v3, vcc
	v_addc_co_u32_e32 v3, vcc, 0, v9, vcc
	v_add_co_u32_e32 v8, vcc, v2, v8
	v_addc_co_u32_e32 v9, vcc, 0, v3, vcc
	v_mul_lo_u32 v13, s15, v8
	v_mul_lo_u32 v14, s14, v9
	v_mad_u64_u32 v[2:3], s[0:1], s14, v8, 0
	v_add3_u32 v3, v3, v14, v13
	v_sub_u32_e32 v13, v12, v3
	v_mov_b32_e32 v14, s15
	v_sub_co_u32_e32 v2, vcc, v11, v2
	v_subb_co_u32_e64 v11, s[0:1], v13, v14, vcc
	v_subrev_co_u32_e64 v13, s[0:1], s14, v2
	v_subbrev_co_u32_e64 v11, s[0:1], 0, v11, s[0:1]
	v_cmp_le_u32_e64 s[0:1], s15, v11
	v_cndmask_b32_e64 v14, 0, -1, s[0:1]
	v_cmp_le_u32_e64 s[0:1], s14, v13
	v_cndmask_b32_e64 v13, 0, -1, s[0:1]
	v_cmp_eq_u32_e64 s[0:1], s15, v11
	v_cndmask_b32_e64 v11, v14, v13, s[0:1]
	v_add_co_u32_e64 v13, s[0:1], 2, v8
	v_subb_co_u32_e32 v3, vcc, v12, v3, vcc
	v_addc_co_u32_e64 v14, s[0:1], 0, v9, s[0:1]
	v_cmp_le_u32_e32 vcc, s15, v3
	v_add_co_u32_e64 v15, s[0:1], 1, v8
	v_cndmask_b32_e64 v12, 0, -1, vcc
	v_cmp_le_u32_e32 vcc, s14, v2
	v_addc_co_u32_e64 v16, s[0:1], 0, v9, s[0:1]
	v_cndmask_b32_e64 v2, 0, -1, vcc
	v_cmp_eq_u32_e32 vcc, s15, v3
	v_cmp_ne_u32_e64 s[0:1], 0, v11
	v_cndmask_b32_e32 v2, v12, v2, vcc
	v_cndmask_b32_e64 v11, v16, v14, s[0:1]
	v_cmp_ne_u32_e32 vcc, 0, v2
	v_cndmask_b32_e64 v3, v15, v13, s[0:1]
	v_cndmask_b32_e32 v2, v9, v11, vcc
	v_cndmask_b32_e32 v3, v8, v3, vcc
	v_xor_b32_e32 v8, s12, v10
	v_xor_b32_e32 v9, v2, v8
	;; [unrolled: 1-line block ×3, first 2 shown]
	v_sub_co_u32_e32 v2, vcc, v2, v8
	v_subb_co_u32_e32 v3, vcc, v9, v8, vcc
.LBB2_11:
	s_andn2_saveexec_b64 s[0:1], s[2:3]
	s_cbranch_execz .LBB2_13
; %bb.12:
	v_cvt_f32_u32_e32 v2, s6
	s_sub_i32 s2, 0, s6
	v_rcp_iflag_f32_e32 v2, v2
	v_mul_f32_e32 v2, 0x4f7ffffe, v2
	v_cvt_u32_f32_e32 v2, v2
	v_mul_lo_u32 v3, s2, v2
	v_mul_hi_u32 v3, v2, v3
	v_add_u32_e32 v2, v2, v3
	v_mul_hi_u32 v2, v4, v2
	v_mul_lo_u32 v3, v2, s6
	v_add_u32_e32 v8, 1, v2
	v_sub_u32_e32 v3, v4, v3
	v_subrev_u32_e32 v9, s6, v3
	v_cmp_le_u32_e32 vcc, s6, v3
	v_cndmask_b32_e32 v3, v3, v9, vcc
	v_cndmask_b32_e32 v2, v2, v8, vcc
	v_add_u32_e32 v8, 1, v2
	v_cmp_le_u32_e32 vcc, s6, v3
	v_cndmask_b32_e32 v2, v2, v8, vcc
	v_mov_b32_e32 v3, 0
.LBB2_13:
	s_or_b64 exec, exec, s[0:1]
	s_load_dwordx8 s[12:19], s[4:5], 0xe0
	v_mul_lo_u32 v8, v7, s10
	v_mul_lo_u32 v9, v6, s11
	v_mad_u64_u32 v[6:7], s[0:1], v6, s10, 0
	s_load_dwordx2 s[0:1], s[4:5], 0x100
	s_load_dwordx2 s[2:3], s[4:5], 0xb0
	s_waitcnt lgkmcnt(0)
	s_mul_i32 s6, s13, s8
	s_mul_hi_u32 s9, s12, s8
	s_add_i32 s11, s9, s6
	s_mul_i32 s10, s12, s8
	s_lshl_b64 s[10:11], s[10:11], 3
	s_add_u32 s6, s2, s10
	v_add3_u32 v7, v7, v9, v8
	v_sub_co_u32_e32 v12, vcc, v4, v6
	s_addc_u32 s9, s3, s11
	s_mul_i32 s2, s15, s7
	s_mul_hi_u32 s3, s14, s7
	v_subb_co_u32_e32 v13, vcc, v5, v7, vcc
	s_add_i32 s3, s3, s2
	s_mul_i32 s2, s14, s7
	v_mul_lo_u32 v6, s17, v2
	v_mul_lo_u32 v7, s16, v3
	v_mad_u64_u32 v[4:5], s[10:11], s16, v2, 0
	s_lshl_b64 s[2:3], s[2:3], 3
	s_add_u32 s6, s6, s2
	s_addc_u32 s2, s9, s3
	v_add3_u32 v5, v5, v7, v6
	v_mov_b32_e32 v8, s2
	v_mul_lo_u32 v9, s19, v0
	v_mul_lo_u32 v10, s18, v1
	v_mad_u64_u32 v[6:7], s[2:3], s18, v0, 0
	v_lshlrev_b64 v[4:5], 3, v[4:5]
	v_add_co_u32_e32 v11, vcc, s6, v4
	v_add3_u32 v7, v7, v10, v9
	v_addc_co_u32_e32 v8, vcc, v8, v5, vcc
	v_lshlrev_b64 v[4:5], 3, v[6:7]
	v_mul_lo_u32 v9, s1, v12
	v_mul_lo_u32 v10, s0, v13
	v_mad_u64_u32 v[6:7], s[0:1], s0, v12, 0
	v_add_co_u32_e32 v11, vcc, v11, v4
	v_add3_u32 v7, v7, v10, v9
	v_addc_co_u32_e32 v8, vcc, v8, v5, vcc
	v_lshlrev_b64 v[4:5], 3, v[6:7]
	s_mov_b64 s[0:1], 0
	v_add_co_u32_e32 v4, vcc, v11, v4
	v_addc_co_u32_e32 v5, vcc, v8, v5, vcc
	global_load_dwordx2 v[4:5], v[4:5], off
	s_waitcnt vmcnt(0)
	v_cmp_lt_i64_e32 vcc, -1, v[4:5]
	s_and_saveexec_b64 s[2:3], vcc
	s_xor_b64 s[10:11], exec, s[2:3]
	s_cbranch_execz .LBB2_36
; %bb.14:
	s_load_dwordx4 s[12:15], s[4:5], 0x20
	v_mov_b32_e32 v6, 0
	s_waitcnt lgkmcnt(0)
	s_mul_i32 s0, s12, s15
	s_mul_hi_u32 s1, s12, s14
	s_mul_i32 s2, s13, s14
	s_add_i32 s0, s1, s0
	s_add_i32 s0, s0, s2
	v_or_b32_e32 v7, s0, v5
	v_cmp_ne_u64_e32 vcc, 0, v[6:7]
	s_mul_i32 s6, s12, s14
                                        ; implicit-def: $vgpr6_vgpr7
	s_and_saveexec_b64 s[2:3], vcc
	s_xor_b64 s[2:3], exec, s[2:3]
	s_cbranch_execz .LBB2_16
; %bb.15:
	s_ashr_i32 s16, s0, 31
	s_add_u32 s18, s6, s16
	s_mov_b32 s17, s16
	s_addc_u32 s19, s0, s16
	s_xor_b64 s[18:19], s[18:19], s[16:17]
	v_cvt_f32_u32_e32 v6, s18
	v_cvt_f32_u32_e32 v7, s19
	s_sub_u32 s9, 0, s18
	s_subb_u32 s17, 0, s19
	v_ashrrev_i32_e32 v10, 31, v5
	v_madmk_f32 v6, v7, 0x4f800000, v6
	v_rcp_f32_e32 v6, v6
	v_mul_f32_e32 v6, 0x5f7ffffc, v6
	v_mul_f32_e32 v7, 0x2f800000, v6
	v_trunc_f32_e32 v7, v7
	v_madmk_f32 v6, v7, 0xcf800000, v6
	v_cvt_u32_f32_e32 v7, v7
	v_cvt_u32_f32_e32 v6, v6
	v_readfirstlane_b32 s20, v7
	v_readfirstlane_b32 s0, v6
	s_mul_i32 s1, s9, s20
	s_mul_hi_u32 s22, s9, s0
	s_mul_i32 s21, s17, s0
	s_add_i32 s1, s22, s1
	s_add_i32 s1, s1, s21
	s_mul_i32 s23, s9, s0
	s_mul_i32 s22, s0, s1
	s_mul_hi_u32 s24, s0, s23
	s_mul_hi_u32 s21, s0, s1
	s_add_u32 s22, s24, s22
	s_addc_u32 s21, 0, s21
	s_mul_hi_u32 s25, s20, s23
	s_mul_i32 s23, s20, s23
	s_add_u32 s22, s22, s23
	s_mul_hi_u32 s24, s20, s1
	s_addc_u32 s21, s21, s25
	s_addc_u32 s22, s24, 0
	s_mul_i32 s1, s20, s1
	s_add_u32 s1, s21, s1
	s_addc_u32 s21, 0, s22
	s_add_u32 s22, s0, s1
	s_cselect_b64 s[0:1], -1, 0
	s_cmp_lg_u64 s[0:1], 0
	s_addc_u32 s20, s20, s21
	s_mul_i32 s0, s9, s20
	s_mul_hi_u32 s1, s9, s22
	s_add_i32 s0, s1, s0
	s_mul_i32 s17, s17, s22
	s_add_i32 s0, s0, s17
	s_mul_i32 s9, s9, s22
	s_mul_hi_u32 s17, s20, s9
	s_mul_i32 s21, s20, s9
	s_mul_i32 s24, s22, s0
	s_mul_hi_u32 s9, s22, s9
	s_mul_hi_u32 s23, s22, s0
	s_add_u32 s9, s9, s24
	s_addc_u32 s23, 0, s23
	s_add_u32 s9, s9, s21
	s_mul_hi_u32 s1, s20, s0
	s_addc_u32 s9, s23, s17
	s_addc_u32 s1, s1, 0
	s_mul_i32 s0, s20, s0
	s_add_u32 s0, s9, s0
	s_addc_u32 s9, 0, s1
	s_add_u32 s17, s22, s0
	s_cselect_b64 s[0:1], -1, 0
	s_cmp_lg_u64 s[0:1], 0
	v_add_co_u32_e32 v6, vcc, v4, v10
	s_addc_u32 s9, s20, s9
	v_xor_b32_e32 v11, v6, v10
	v_mad_u64_u32 v[6:7], s[0:1], v11, s9, 0
	v_mul_hi_u32 v9, v11, s17
	v_addc_co_u32_e32 v8, vcc, v5, v10, vcc
	v_xor_b32_e32 v14, v8, v10
	v_add_co_u32_e32 v15, vcc, v9, v6
	v_addc_co_u32_e32 v16, vcc, 0, v7, vcc
	v_mad_u64_u32 v[6:7], s[0:1], v14, s17, 0
	v_mad_u64_u32 v[8:9], s[0:1], v14, s9, 0
	v_add_co_u32_e32 v6, vcc, v15, v6
	v_addc_co_u32_e32 v6, vcc, v16, v7, vcc
	v_addc_co_u32_e32 v7, vcc, 0, v9, vcc
	v_add_co_u32_e32 v8, vcc, v6, v8
	v_addc_co_u32_e32 v9, vcc, 0, v7, vcc
	v_mul_lo_u32 v15, s19, v8
	v_mul_lo_u32 v16, s18, v9
	v_mad_u64_u32 v[6:7], s[0:1], s18, v8, 0
	v_add3_u32 v7, v7, v16, v15
	v_sub_u32_e32 v15, v14, v7
	v_mov_b32_e32 v16, s19
	v_sub_co_u32_e32 v6, vcc, v11, v6
	v_subb_co_u32_e64 v11, s[0:1], v15, v16, vcc
	v_subrev_co_u32_e64 v15, s[0:1], s18, v6
	v_subbrev_co_u32_e64 v11, s[0:1], 0, v11, s[0:1]
	v_cmp_le_u32_e64 s[0:1], s19, v11
	v_cndmask_b32_e64 v16, 0, -1, s[0:1]
	v_cmp_le_u32_e64 s[0:1], s18, v15
	v_cndmask_b32_e64 v15, 0, -1, s[0:1]
	v_cmp_eq_u32_e64 s[0:1], s19, v11
	v_cndmask_b32_e64 v11, v16, v15, s[0:1]
	v_add_co_u32_e64 v15, s[0:1], 2, v8
	v_subb_co_u32_e32 v7, vcc, v14, v7, vcc
	v_addc_co_u32_e64 v16, s[0:1], 0, v9, s[0:1]
	v_cmp_le_u32_e32 vcc, s19, v7
	v_add_co_u32_e64 v17, s[0:1], 1, v8
	v_cndmask_b32_e64 v14, 0, -1, vcc
	v_cmp_le_u32_e32 vcc, s18, v6
	v_addc_co_u32_e64 v18, s[0:1], 0, v9, s[0:1]
	v_cndmask_b32_e64 v6, 0, -1, vcc
	v_cmp_eq_u32_e32 vcc, s19, v7
	v_cmp_ne_u32_e64 s[0:1], 0, v11
	v_cndmask_b32_e32 v6, v14, v6, vcc
	v_cndmask_b32_e64 v11, v18, v16, s[0:1]
	v_cmp_ne_u32_e32 vcc, 0, v6
	v_cndmask_b32_e64 v7, v17, v15, s[0:1]
	v_cndmask_b32_e32 v6, v9, v11, vcc
	v_cndmask_b32_e32 v7, v8, v7, vcc
	v_xor_b32_e32 v8, s16, v10
	v_xor_b32_e32 v9, v6, v8
	;; [unrolled: 1-line block ×3, first 2 shown]
	v_sub_co_u32_e32 v6, vcc, v6, v8
	v_subb_co_u32_e32 v7, vcc, v9, v8, vcc
.LBB2_16:
	s_andn2_saveexec_b64 s[0:1], s[2:3]
	s_cbranch_execz .LBB2_18
; %bb.17:
	v_cvt_f32_u32_e32 v6, s6
	s_sub_i32 s2, 0, s6
	v_rcp_iflag_f32_e32 v6, v6
	v_mul_f32_e32 v6, 0x4f7ffffe, v6
	v_cvt_u32_f32_e32 v6, v6
	v_mul_lo_u32 v7, s2, v6
	v_mul_hi_u32 v7, v6, v7
	v_add_u32_e32 v6, v6, v7
	v_mul_hi_u32 v6, v4, v6
	v_mul_lo_u32 v7, v6, s6
	v_add_u32_e32 v8, 1, v6
	v_sub_u32_e32 v7, v4, v7
	v_subrev_u32_e32 v9, s6, v7
	v_cmp_le_u32_e32 vcc, s6, v7
	v_cndmask_b32_e32 v7, v7, v9, vcc
	v_cndmask_b32_e32 v6, v6, v8, vcc
	v_add_u32_e32 v8, 1, v6
	v_cmp_le_u32_e32 vcc, s6, v7
	v_cndmask_b32_e32 v6, v6, v8, vcc
	v_mov_b32_e32 v7, 0
.LBB2_18:
	s_or_b64 exec, exec, s[0:1]
	s_load_dwordx2 s[0:1], s[4:5], 0x18
	s_mov_b64 s[16:17], 0
	s_waitcnt lgkmcnt(0)
	v_cmp_le_i64_e32 vcc, s[0:1], v[6:7]
	s_and_saveexec_b64 s[0:1], vcc
	s_xor_b64 s[0:1], exec, s[0:1]
	s_cbranch_execnz .LBB2_41
; %bb.19:
	s_andn2_saveexec_b64 s[18:19], s[0:1]
	s_cbranch_execz .LBB2_35
.LBB2_20:
	v_or_b32_e32 v9, s15, v5
	v_mov_b32_e32 v8, 0
	v_cmp_ne_u64_e32 vcc, 0, v[8:9]
                                        ; implicit-def: $vgpr8_vgpr9
	s_and_saveexec_b64 s[0:1], vcc
	s_xor_b64 s[2:3], exec, s[0:1]
	s_cbranch_execz .LBB2_22
; %bb.21:
	s_ashr_i32 s20, s15, 31
	s_add_u32 s0, s14, s20
	s_mov_b32 s21, s20
	s_addc_u32 s1, s15, s20
	s_xor_b64 s[22:23], s[0:1], s[20:21]
	v_cvt_f32_u32_e32 v8, s22
	v_cvt_f32_u32_e32 v9, s23
	s_sub_u32 s6, 0, s22
	s_subb_u32 s9, 0, s23
	v_ashrrev_i32_e32 v14, 31, v5
	v_madmk_f32 v8, v9, 0x4f800000, v8
	v_rcp_f32_e32 v8, v8
	v_mul_f32_e32 v8, 0x5f7ffffc, v8
	v_mul_f32_e32 v9, 0x2f800000, v8
	v_trunc_f32_e32 v9, v9
	v_madmk_f32 v8, v9, 0xcf800000, v8
	v_cvt_u32_f32_e32 v9, v9
	v_cvt_u32_f32_e32 v8, v8
	v_readfirstlane_b32 s21, v9
	v_readfirstlane_b32 s0, v8
	s_mul_i32 s1, s6, s21
	s_mul_hi_u32 s25, s6, s0
	s_mul_i32 s24, s9, s0
	s_add_i32 s1, s25, s1
	s_add_i32 s1, s1, s24
	s_mul_i32 s26, s6, s0
	s_mul_i32 s25, s0, s1
	s_mul_hi_u32 s27, s0, s26
	s_mul_hi_u32 s24, s0, s1
	s_add_u32 s25, s27, s25
	s_addc_u32 s24, 0, s24
	s_mul_hi_u32 s28, s21, s26
	s_mul_i32 s26, s21, s26
	s_add_u32 s25, s25, s26
	s_mul_hi_u32 s27, s21, s1
	s_addc_u32 s24, s24, s28
	s_addc_u32 s25, s27, 0
	s_mul_i32 s1, s21, s1
	s_add_u32 s1, s24, s1
	s_addc_u32 s24, 0, s25
	s_add_u32 s25, s0, s1
	s_cselect_b64 s[0:1], -1, 0
	s_cmp_lg_u64 s[0:1], 0
	s_addc_u32 s21, s21, s24
	s_mul_i32 s0, s6, s21
	s_mul_hi_u32 s1, s6, s25
	s_add_i32 s0, s1, s0
	s_mul_i32 s9, s9, s25
	s_add_i32 s0, s0, s9
	s_mul_i32 s6, s6, s25
	s_mul_hi_u32 s9, s21, s6
	s_mul_i32 s24, s21, s6
	s_mul_i32 s27, s25, s0
	s_mul_hi_u32 s6, s25, s6
	s_mul_hi_u32 s26, s25, s0
	s_add_u32 s6, s6, s27
	s_addc_u32 s26, 0, s26
	s_add_u32 s6, s6, s24
	s_mul_hi_u32 s1, s21, s0
	s_addc_u32 s6, s26, s9
	s_addc_u32 s1, s1, 0
	s_mul_i32 s0, s21, s0
	s_add_u32 s0, s6, s0
	s_addc_u32 s6, 0, s1
	s_add_u32 s9, s25, s0
	s_cselect_b64 s[0:1], -1, 0
	s_cmp_lg_u64 s[0:1], 0
	v_add_co_u32_e32 v8, vcc, v4, v14
	s_addc_u32 s6, s21, s6
	v_xor_b32_e32 v15, v8, v14
	v_mad_u64_u32 v[8:9], s[0:1], v15, s6, 0
	v_mul_hi_u32 v11, v15, s9
	v_addc_co_u32_e32 v10, vcc, v5, v14, vcc
	v_xor_b32_e32 v16, v10, v14
	v_add_co_u32_e32 v17, vcc, v11, v8
	v_addc_co_u32_e32 v18, vcc, 0, v9, vcc
	v_mad_u64_u32 v[8:9], s[0:1], v16, s9, 0
	v_mad_u64_u32 v[10:11], s[0:1], v16, s6, 0
	v_add_co_u32_e32 v8, vcc, v17, v8
	v_addc_co_u32_e32 v8, vcc, v18, v9, vcc
	v_addc_co_u32_e32 v9, vcc, 0, v11, vcc
	v_add_co_u32_e32 v10, vcc, v8, v10
	v_addc_co_u32_e32 v11, vcc, 0, v9, vcc
	v_mul_lo_u32 v17, s23, v10
	v_mul_lo_u32 v18, s22, v11
	v_mad_u64_u32 v[8:9], s[0:1], s22, v10, 0
	v_add3_u32 v9, v9, v18, v17
	v_sub_u32_e32 v17, v16, v9
	v_mov_b32_e32 v18, s23
	v_sub_co_u32_e32 v8, vcc, v15, v8
	v_subb_co_u32_e64 v15, s[0:1], v17, v18, vcc
	v_subrev_co_u32_e64 v17, s[0:1], s22, v8
	v_subbrev_co_u32_e64 v15, s[0:1], 0, v15, s[0:1]
	v_cmp_le_u32_e64 s[0:1], s23, v15
	v_cndmask_b32_e64 v18, 0, -1, s[0:1]
	v_cmp_le_u32_e64 s[0:1], s22, v17
	v_cndmask_b32_e64 v17, 0, -1, s[0:1]
	v_cmp_eq_u32_e64 s[0:1], s23, v15
	v_cndmask_b32_e64 v15, v18, v17, s[0:1]
	v_add_co_u32_e64 v17, s[0:1], 2, v10
	v_subb_co_u32_e32 v9, vcc, v16, v9, vcc
	v_addc_co_u32_e64 v18, s[0:1], 0, v11, s[0:1]
	v_cmp_le_u32_e32 vcc, s23, v9
	v_add_co_u32_e64 v19, s[0:1], 1, v10
	v_cndmask_b32_e64 v16, 0, -1, vcc
	v_cmp_le_u32_e32 vcc, s22, v8
	v_addc_co_u32_e64 v20, s[0:1], 0, v11, s[0:1]
	v_cndmask_b32_e64 v8, 0, -1, vcc
	v_cmp_eq_u32_e32 vcc, s23, v9
	v_cmp_ne_u32_e64 s[0:1], 0, v15
	v_cndmask_b32_e32 v8, v16, v8, vcc
	v_cndmask_b32_e64 v15, v20, v18, s[0:1]
	v_cmp_ne_u32_e32 vcc, 0, v8
	v_cndmask_b32_e64 v9, v19, v17, s[0:1]
	v_cndmask_b32_e32 v8, v11, v15, vcc
	v_cndmask_b32_e32 v9, v10, v9, vcc
	v_xor_b32_e32 v10, s20, v14
	v_xor_b32_e32 v11, v8, v10
	;; [unrolled: 1-line block ×3, first 2 shown]
	v_sub_co_u32_e32 v8, vcc, v8, v10
	v_subb_co_u32_e32 v9, vcc, v11, v10, vcc
.LBB2_22:
	s_andn2_saveexec_b64 s[0:1], s[2:3]
	s_cbranch_execz .LBB2_24
; %bb.23:
	v_cvt_f32_u32_e32 v8, s14
	s_sub_i32 s2, 0, s14
	v_rcp_iflag_f32_e32 v8, v8
	v_mul_f32_e32 v8, 0x4f7ffffe, v8
	v_cvt_u32_f32_e32 v8, v8
	v_mul_lo_u32 v9, s2, v8
	v_mul_hi_u32 v9, v8, v9
	v_add_u32_e32 v8, v8, v9
	v_mul_hi_u32 v8, v4, v8
	v_mul_lo_u32 v9, v8, s14
	v_add_u32_e32 v10, 1, v8
	v_sub_u32_e32 v9, v4, v9
	v_subrev_u32_e32 v11, s14, v9
	v_cmp_le_u32_e32 vcc, s14, v9
	v_cndmask_b32_e32 v9, v9, v11, vcc
	v_cndmask_b32_e32 v8, v8, v10, vcc
	v_add_u32_e32 v10, 1, v8
	v_cmp_le_u32_e32 vcc, s14, v9
	v_cndmask_b32_e32 v8, v8, v10, vcc
	v_mov_b32_e32 v9, 0
.LBB2_24:
	s_or_b64 exec, exec, s[0:1]
	v_or_b32_e32 v11, s13, v9
	v_mov_b32_e32 v10, 0
	v_cmp_ne_u64_e32 vcc, 0, v[10:11]
                                        ; implicit-def: $vgpr10_vgpr11
	s_and_saveexec_b64 s[0:1], vcc
	s_xor_b64 s[20:21], exec, s[0:1]
	s_cbranch_execz .LBB2_26
; %bb.25:
	s_ashr_i32 s0, s13, 31
	s_add_u32 s2, s12, s0
	s_mov_b32 s1, s0
	s_addc_u32 s3, s13, s0
	s_xor_b64 s[22:23], s[2:3], s[0:1]
	v_cvt_f32_u32_e32 v10, s22
	v_cvt_f32_u32_e32 v11, s23
	s_sub_u32 s2, 0, s22
	s_subb_u32 s3, 0, s23
	v_ashrrev_i32_e32 v16, 31, v9
	v_madmk_f32 v10, v11, 0x4f800000, v10
	v_rcp_f32_e32 v10, v10
	v_mul_f32_e32 v10, 0x5f7ffffc, v10
	v_mul_f32_e32 v11, 0x2f800000, v10
	v_trunc_f32_e32 v11, v11
	v_madmk_f32 v10, v11, 0xcf800000, v10
	v_cvt_u32_f32_e32 v11, v11
	v_cvt_u32_f32_e32 v10, v10
	v_readfirstlane_b32 s6, v11
	v_readfirstlane_b32 s0, v10
	s_mul_i32 s1, s2, s6
	s_mul_hi_u32 s13, s2, s0
	s_mul_i32 s9, s3, s0
	s_add_i32 s1, s13, s1
	s_add_i32 s1, s1, s9
	s_mul_i32 s24, s2, s0
	s_mul_i32 s13, s0, s1
	s_mul_hi_u32 s25, s0, s24
	s_mul_hi_u32 s9, s0, s1
	s_add_u32 s13, s25, s13
	s_addc_u32 s9, 0, s9
	s_mul_hi_u32 s26, s6, s24
	s_mul_i32 s24, s6, s24
	s_add_u32 s13, s13, s24
	s_mul_hi_u32 s25, s6, s1
	s_addc_u32 s9, s9, s26
	s_addc_u32 s13, s25, 0
	s_mul_i32 s1, s6, s1
	s_add_u32 s1, s9, s1
	s_addc_u32 s9, 0, s13
	s_add_u32 s13, s0, s1
	s_cselect_b64 s[0:1], -1, 0
	s_cmp_lg_u64 s[0:1], 0
	s_addc_u32 s6, s6, s9
	s_mul_i32 s0, s2, s6
	s_mul_hi_u32 s1, s2, s13
	s_add_i32 s0, s1, s0
	s_mul_i32 s3, s3, s13
	s_add_i32 s0, s0, s3
	s_mul_i32 s2, s2, s13
	s_mul_hi_u32 s3, s6, s2
	s_mul_i32 s9, s6, s2
	s_mul_i32 s25, s13, s0
	s_mul_hi_u32 s2, s13, s2
	s_mul_hi_u32 s24, s13, s0
	s_add_u32 s2, s2, s25
	s_addc_u32 s24, 0, s24
	s_add_u32 s2, s2, s9
	s_mul_hi_u32 s1, s6, s0
	s_addc_u32 s2, s24, s3
	s_addc_u32 s1, s1, 0
	s_mul_i32 s0, s6, s0
	s_add_u32 s0, s2, s0
	s_addc_u32 s2, 0, s1
	s_add_u32 s3, s13, s0
	s_cselect_b64 s[0:1], -1, 0
	s_cmp_lg_u64 s[0:1], 0
	v_add_co_u32_e32 v10, vcc, v8, v16
	s_addc_u32 s2, s6, s2
	v_xor_b32_e32 v17, v10, v16
	v_mad_u64_u32 v[10:11], s[0:1], v17, s2, 0
	v_mul_hi_u32 v15, v17, s3
	v_addc_co_u32_e32 v14, vcc, v9, v16, vcc
	v_xor_b32_e32 v18, v14, v16
	v_add_co_u32_e32 v19, vcc, v15, v10
	v_addc_co_u32_e32 v20, vcc, 0, v11, vcc
	v_mad_u64_u32 v[10:11], s[0:1], v18, s3, 0
	v_mad_u64_u32 v[14:15], s[0:1], v18, s2, 0
	v_add_co_u32_e32 v10, vcc, v19, v10
	v_addc_co_u32_e32 v10, vcc, v20, v11, vcc
	v_addc_co_u32_e32 v11, vcc, 0, v15, vcc
	v_add_co_u32_e32 v10, vcc, v10, v14
	v_addc_co_u32_e32 v11, vcc, 0, v11, vcc
	v_mul_lo_u32 v14, s23, v10
	v_mul_lo_u32 v15, s22, v11
	v_mad_u64_u32 v[10:11], s[0:1], s22, v10, 0
	v_add3_u32 v11, v11, v15, v14
	v_sub_u32_e32 v14, v18, v11
	v_mov_b32_e32 v15, s23
	v_sub_co_u32_e32 v10, vcc, v17, v10
	v_subb_co_u32_e64 v14, s[0:1], v14, v15, vcc
	v_subrev_co_u32_e64 v17, s[0:1], s22, v10
	v_subbrev_co_u32_e64 v19, s[2:3], 0, v14, s[0:1]
	v_cmp_le_u32_e64 s[2:3], s23, v19
	v_cndmask_b32_e64 v20, 0, -1, s[2:3]
	v_cmp_le_u32_e64 s[2:3], s22, v17
	v_subb_co_u32_e64 v14, s[0:1], v14, v15, s[0:1]
	v_cndmask_b32_e64 v21, 0, -1, s[2:3]
	v_cmp_eq_u32_e64 s[2:3], s23, v19
	v_subrev_co_u32_e64 v15, s[0:1], s22, v17
	v_subb_co_u32_e32 v11, vcc, v18, v11, vcc
	v_cndmask_b32_e64 v20, v20, v21, s[2:3]
	v_subbrev_co_u32_e64 v14, s[0:1], 0, v14, s[0:1]
	v_cmp_le_u32_e32 vcc, s23, v11
	v_cmp_ne_u32_e64 s[0:1], 0, v20
	v_cndmask_b32_e64 v18, 0, -1, vcc
	v_cmp_le_u32_e32 vcc, s22, v10
	v_cndmask_b32_e64 v14, v19, v14, s[0:1]
	v_cndmask_b32_e64 v19, 0, -1, vcc
	v_cmp_eq_u32_e32 vcc, s23, v11
	v_cndmask_b32_e32 v18, v18, v19, vcc
	v_cmp_ne_u32_e32 vcc, 0, v18
	v_cndmask_b32_e32 v11, v11, v14, vcc
	v_cndmask_b32_e64 v14, v17, v15, s[0:1]
	v_cndmask_b32_e32 v10, v10, v14, vcc
	v_xor_b32_e32 v10, v10, v16
	v_xor_b32_e32 v11, v11, v16
	v_sub_co_u32_e32 v10, vcc, v10, v16
	v_subb_co_u32_e32 v11, vcc, v11, v16, vcc
.LBB2_26:
	s_andn2_saveexec_b64 s[0:1], s[20:21]
	s_cbranch_execz .LBB2_28
; %bb.27:
	v_cvt_f32_u32_e32 v10, s12
	s_sub_i32 s2, 0, s12
	v_rcp_iflag_f32_e32 v10, v10
	v_mul_f32_e32 v10, 0x4f7ffffe, v10
	v_cvt_u32_f32_e32 v10, v10
	v_mul_lo_u32 v11, s2, v10
	v_mul_hi_u32 v11, v10, v11
	v_add_u32_e32 v10, v10, v11
	v_mul_hi_u32 v10, v8, v10
	v_mul_lo_u32 v10, v10, s12
	v_sub_u32_e32 v10, v8, v10
	v_subrev_u32_e32 v11, s12, v10
	v_cmp_le_u32_e32 vcc, s12, v10
	v_cndmask_b32_e32 v10, v10, v11, vcc
	v_subrev_u32_e32 v11, s12, v10
	v_cmp_le_u32_e32 vcc, s12, v10
	v_cndmask_b32_e32 v10, v10, v11, vcc
	v_mov_b32_e32 v11, 0
.LBB2_28:
	s_or_b64 exec, exec, s[0:1]
	s_load_dwordx8 s[20:27], s[4:5], 0x30
	v_mul_lo_u32 v14, v9, s14
	v_mul_lo_u32 v15, v8, s15
	v_mad_u64_u32 v[8:9], s[0:1], v8, s14, 0
	s_load_dwordx4 s[0:3], s[4:5], 0x50
	s_load_dwordx2 s[12:13], s[4:5], 0x0
	s_waitcnt lgkmcnt(0)
	s_mul_i32 s6, s21, s8
	s_mul_hi_u32 s9, s20, s8
	s_add_i32 s15, s9, s6
	s_mul_i32 s14, s20, s8
	s_lshl_b64 s[14:15], s[14:15], 1
	v_add3_u32 v9, v9, v15, v14
	v_sub_co_u32_e32 v8, vcc, v4, v8
	s_add_u32 s6, s12, s14
	v_subb_co_u32_e32 v9, vcc, v5, v9, vcc
	s_addc_u32 s9, s13, s15
	s_mul_i32 s12, s23, s7
	s_mul_hi_u32 s13, s22, s7
	v_mul_lo_u32 v14, s25, v6
	v_mul_lo_u32 v7, s24, v7
	v_mad_u64_u32 v[4:5], s[14:15], s24, v6, 0
	s_add_i32 s13, s13, s12
	s_mul_i32 s12, s22, s7
	s_lshl_b64 s[12:13], s[12:13], 1
	s_add_u32 s6, s6, s12
	s_addc_u32 s9, s9, s13
	v_add3_u32 v5, v5, v7, v14
	v_mul_lo_u32 v15, s27, v10
	v_mul_lo_u32 v11, s26, v11
	v_mad_u64_u32 v[6:7], s[12:13], s26, v10, 0
	v_lshlrev_b64 v[4:5], 1, v[4:5]
	s_load_dwordx8 s[20:27], s[4:5], 0x88
	v_mov_b32_e32 v14, s9
	v_add_co_u32_e32 v10, vcc, s6, v4
	v_add3_u32 v7, v7, v11, v15
	v_addc_co_u32_e32 v14, vcc, v14, v5, vcc
	v_lshlrev_b64 v[4:5], 1, v[6:7]
	v_mul_lo_u32 v11, s1, v8
	v_mul_lo_u32 v9, s0, v9
	v_mad_u64_u32 v[6:7], s[0:1], s0, v8, 0
	s_load_dwordx2 s[0:1], s[4:5], 0xa8
	s_waitcnt lgkmcnt(0)
	s_mul_i32 s4, s21, s8
	s_mul_hi_u32 s5, s20, s8
	v_add_co_u32_e32 v8, vcc, v10, v4
	v_add3_u32 v7, v7, v9, v11
	s_add_i32 s5, s5, s4
	s_mul_i32 s4, s20, s8
	v_addc_co_u32_e32 v10, vcc, v14, v5, vcc
	v_lshlrev_b64 v[4:5], 1, v[6:7]
	s_lshl_b64 s[4:5], s[4:5], 1
	s_add_u32 s6, s2, s4
	v_add_co_u32_e32 v6, vcc, v8, v4
	s_addc_u32 s8, s3, s5
	s_mul_i32 s2, s23, s7
	s_mul_hi_u32 s3, s22, s7
	v_addc_co_u32_e32 v7, vcc, v10, v5, vcc
	s_add_i32 s3, s3, s2
	s_mul_i32 s2, s22, s7
	v_mul_lo_u32 v4, s25, v2
	v_mul_lo_u32 v5, s24, v3
	v_mad_u64_u32 v[2:3], s[4:5], s24, v2, 0
	s_lshl_b64 s[2:3], s[2:3], 1
	s_add_u32 s4, s6, s2
	s_addc_u32 s2, s8, s3
	v_add3_u32 v3, v3, v5, v4
	v_mov_b32_e32 v4, s2
	v_mul_lo_u32 v5, s27, v0
	v_mul_lo_u32 v8, s26, v1
	v_mad_u64_u32 v[0:1], s[2:3], s26, v0, 0
	v_lshlrev_b64 v[2:3], 1, v[2:3]
	s_mov_b32 s6, 0xffff0000
	v_add_co_u32_e32 v9, vcc, s4, v2
	v_addc_co_u32_e32 v4, vcc, v4, v3, vcc
	v_add3_u32 v1, v1, v8, v5
	v_mul_lo_u32 v5, s1, v12
	v_mul_lo_u32 v8, s0, v13
	v_mad_u64_u32 v[2:3], s[0:1], s0, v12, 0
	v_lshlrev_b64 v[0:1], 1, v[0:1]
	s_mov_b64 s[4:5], 0
	v_add_co_u32_e32 v9, vcc, v9, v0
	v_add3_u32 v3, v3, v8, v5
	v_addc_co_u32_e32 v4, vcc, v4, v1, vcc
	v_lshlrev_b64 v[0:1], 1, v[2:3]
	v_and_b32_e32 v5, 2, v6
	v_add_co_u32_e32 v0, vcc, v9, v0
	v_addc_co_u32_e32 v1, vcc, v4, v1, vcc
	global_load_ushort v4, v[0:1], off
	v_sub_co_u32_e32 v0, vcc, 0, v5
	v_subb_co_u32_e64 v1, s[0:1], 0, 0, vcc
	v_add_co_u32_e32 v0, vcc, v6, v0
	v_addc_co_u32_e32 v1, vcc, v7, v1, vcc
	global_load_dword v3, v[0:1], off
	v_mov_b32_e32 v6, 0
	v_cmp_eq_u64_e32 vcc, 0, v[5:6]
	v_cmp_ne_u32_e64 s[0:1], 0, v5
	s_branch .LBB2_30
.LBB2_29:                               ;   in Loop: Header=BB2_30 Depth=1
	s_or_b64 exec, exec, s[2:3]
	global_atomic_cmpswap v2, v[0:1], v[2:3], off glc
	s_waitcnt vmcnt(0)
	v_cmp_eq_u32_e64 s[2:3], v3, v2
	s_or_b64 s[4:5], s[2:3], s[4:5]
	v_mov_b32_e32 v3, v2
	s_andn2_b64 exec, exec, s[4:5]
	s_cbranch_execz .LBB2_34
.LBB2_30:                               ; =>This Inner Loop Header: Depth=1
	s_waitcnt vmcnt(0)
	v_cndmask_b32_sdwa v2, v3, v3, vcc dst_sel:DWORD dst_unused:UNUSED_PAD src0_sel:WORD_1 src1_sel:DWORD
	v_add_f16_e32 v5, v4, v2
	s_and_saveexec_b64 s[2:3], s[0:1]
	s_xor_b64 s[2:3], exec, s[2:3]
; %bb.31:                               ;   in Loop: Header=BB2_30 Depth=1
	v_and_b32_e32 v2, 0xffff, v3
	v_lshl_or_b32 v2, v5, 16, v2
                                        ; implicit-def: $vgpr5
; %bb.32:                               ;   in Loop: Header=BB2_30 Depth=1
	s_andn2_saveexec_b64 s[2:3], s[2:3]
	s_cbranch_execz .LBB2_29
; %bb.33:                               ;   in Loop: Header=BB2_30 Depth=1
	v_and_or_b32 v2, v3, s6, v5
	s_branch .LBB2_29
.LBB2_34:
	s_or_b64 exec, exec, s[4:5]
.LBB2_35:
	s_or_b64 exec, exec, s[18:19]
	s_and_b64 s[0:1], s[16:17], exec
.LBB2_36:
	s_andn2_saveexec_b64 s[2:3], s[10:11]
	s_cbranch_execnz .LBB2_40
; %bb.37:
	s_or_b64 exec, exec, s[2:3]
	s_and_b64 exec, exec, s[0:1]
.LBB2_38:
	; divergent unreachable
.LBB2_39:
	s_endpgm
.LBB2_40:
	s_or_b64 s[0:1], s[0:1], exec
	s_trap 2
	s_or_b64 exec, exec, s[2:3]
	s_and_b64 exec, exec, s[0:1]
	s_cbranch_execnz .LBB2_38
	s_branch .LBB2_39
.LBB2_41:
	s_mov_b64 s[16:17], exec
	s_trap 2
                                        ; implicit-def: $vgpr4_vgpr5
                                        ; implicit-def: $vgpr6_vgpr7
                                        ; implicit-def: $vgpr2_vgpr3
                                        ; implicit-def: $vgpr0_vgpr1
                                        ; implicit-def: $vgpr12
                                        ; implicit-def: $vgpr13
	s_andn2_saveexec_b64 s[18:19], s[0:1]
	s_cbranch_execnz .LBB2_20
	s_branch .LBB2_35
	.section	.rodata,"a",@progbits
	.p2align	6, 0x0
	.amdhsa_kernel _ZN2at6native12_GLOBAL__N_140fractional_max_pool3d_backward_out_frameIN3c104HalfEEEvN5torch10headeronly6detail27GenericPackedTensorAccessorINS7_14TensorAccessorINS3_8ArrayRefIlEET_Lm4ENS6_16DefaultPtrTraitsElEENS_6detail16IndexBoundsCheckILm5ElEESC_Lm5ESD_lEENS8_INS9_ISB_KSC_Lm4ESD_lEESH_SJ_Lm5ESD_lEENS8_INS9_ISB_KlLm4ESD_lEESH_SM_Lm5ESD_lEE
		.amdhsa_group_segment_fixed_size 0
		.amdhsa_private_segment_fixed_size 0
		.amdhsa_kernarg_size 520
		.amdhsa_user_sgpr_count 6
		.amdhsa_user_sgpr_private_segment_buffer 1
		.amdhsa_user_sgpr_dispatch_ptr 0
		.amdhsa_user_sgpr_queue_ptr 0
		.amdhsa_user_sgpr_kernarg_segment_ptr 1
		.amdhsa_user_sgpr_dispatch_id 0
		.amdhsa_user_sgpr_flat_scratch_init 0
		.amdhsa_user_sgpr_private_segment_size 0
		.amdhsa_uses_dynamic_stack 0
		.amdhsa_system_sgpr_private_segment_wavefront_offset 0
		.amdhsa_system_sgpr_workgroup_id_x 1
		.amdhsa_system_sgpr_workgroup_id_y 1
		.amdhsa_system_sgpr_workgroup_id_z 1
		.amdhsa_system_sgpr_workgroup_info 0
		.amdhsa_system_vgpr_workitem_id 0
		.amdhsa_next_free_vgpr 22
		.amdhsa_next_free_sgpr 29
		.amdhsa_reserve_vcc 1
		.amdhsa_reserve_flat_scratch 0
		.amdhsa_float_round_mode_32 0
		.amdhsa_float_round_mode_16_64 0
		.amdhsa_float_denorm_mode_32 3
		.amdhsa_float_denorm_mode_16_64 3
		.amdhsa_dx10_clamp 1
		.amdhsa_ieee_mode 1
		.amdhsa_fp16_overflow 0
		.amdhsa_exception_fp_ieee_invalid_op 0
		.amdhsa_exception_fp_denorm_src 0
		.amdhsa_exception_fp_ieee_div_zero 0
		.amdhsa_exception_fp_ieee_overflow 0
		.amdhsa_exception_fp_ieee_underflow 0
		.amdhsa_exception_fp_ieee_inexact 0
		.amdhsa_exception_int_div_zero 0
	.end_amdhsa_kernel
	.section	.text._ZN2at6native12_GLOBAL__N_140fractional_max_pool3d_backward_out_frameIN3c104HalfEEEvN5torch10headeronly6detail27GenericPackedTensorAccessorINS7_14TensorAccessorINS3_8ArrayRefIlEET_Lm4ENS6_16DefaultPtrTraitsElEENS_6detail16IndexBoundsCheckILm5ElEESC_Lm5ESD_lEENS8_INS9_ISB_KSC_Lm4ESD_lEESH_SJ_Lm5ESD_lEENS8_INS9_ISB_KlLm4ESD_lEESH_SM_Lm5ESD_lEE,"axG",@progbits,_ZN2at6native12_GLOBAL__N_140fractional_max_pool3d_backward_out_frameIN3c104HalfEEEvN5torch10headeronly6detail27GenericPackedTensorAccessorINS7_14TensorAccessorINS3_8ArrayRefIlEET_Lm4ENS6_16DefaultPtrTraitsElEENS_6detail16IndexBoundsCheckILm5ElEESC_Lm5ESD_lEENS8_INS9_ISB_KSC_Lm4ESD_lEESH_SJ_Lm5ESD_lEENS8_INS9_ISB_KlLm4ESD_lEESH_SM_Lm5ESD_lEE,comdat
.Lfunc_end2:
	.size	_ZN2at6native12_GLOBAL__N_140fractional_max_pool3d_backward_out_frameIN3c104HalfEEEvN5torch10headeronly6detail27GenericPackedTensorAccessorINS7_14TensorAccessorINS3_8ArrayRefIlEET_Lm4ENS6_16DefaultPtrTraitsElEENS_6detail16IndexBoundsCheckILm5ElEESC_Lm5ESD_lEENS8_INS9_ISB_KSC_Lm4ESD_lEESH_SJ_Lm5ESD_lEENS8_INS9_ISB_KlLm4ESD_lEESH_SM_Lm5ESD_lEE, .Lfunc_end2-_ZN2at6native12_GLOBAL__N_140fractional_max_pool3d_backward_out_frameIN3c104HalfEEEvN5torch10headeronly6detail27GenericPackedTensorAccessorINS7_14TensorAccessorINS3_8ArrayRefIlEET_Lm4ENS6_16DefaultPtrTraitsElEENS_6detail16IndexBoundsCheckILm5ElEESC_Lm5ESD_lEENS8_INS9_ISB_KSC_Lm4ESD_lEESH_SJ_Lm5ESD_lEENS8_INS9_ISB_KlLm4ESD_lEESH_SM_Lm5ESD_lEE
                                        ; -- End function
	.set _ZN2at6native12_GLOBAL__N_140fractional_max_pool3d_backward_out_frameIN3c104HalfEEEvN5torch10headeronly6detail27GenericPackedTensorAccessorINS7_14TensorAccessorINS3_8ArrayRefIlEET_Lm4ENS6_16DefaultPtrTraitsElEENS_6detail16IndexBoundsCheckILm5ElEESC_Lm5ESD_lEENS8_INS9_ISB_KSC_Lm4ESD_lEESH_SJ_Lm5ESD_lEENS8_INS9_ISB_KlLm4ESD_lEESH_SM_Lm5ESD_lEE.num_vgpr, 22
	.set _ZN2at6native12_GLOBAL__N_140fractional_max_pool3d_backward_out_frameIN3c104HalfEEEvN5torch10headeronly6detail27GenericPackedTensorAccessorINS7_14TensorAccessorINS3_8ArrayRefIlEET_Lm4ENS6_16DefaultPtrTraitsElEENS_6detail16IndexBoundsCheckILm5ElEESC_Lm5ESD_lEENS8_INS9_ISB_KSC_Lm4ESD_lEESH_SJ_Lm5ESD_lEENS8_INS9_ISB_KlLm4ESD_lEESH_SM_Lm5ESD_lEE.num_agpr, 0
	.set _ZN2at6native12_GLOBAL__N_140fractional_max_pool3d_backward_out_frameIN3c104HalfEEEvN5torch10headeronly6detail27GenericPackedTensorAccessorINS7_14TensorAccessorINS3_8ArrayRefIlEET_Lm4ENS6_16DefaultPtrTraitsElEENS_6detail16IndexBoundsCheckILm5ElEESC_Lm5ESD_lEENS8_INS9_ISB_KSC_Lm4ESD_lEESH_SJ_Lm5ESD_lEENS8_INS9_ISB_KlLm4ESD_lEESH_SM_Lm5ESD_lEE.numbered_sgpr, 29
	.set _ZN2at6native12_GLOBAL__N_140fractional_max_pool3d_backward_out_frameIN3c104HalfEEEvN5torch10headeronly6detail27GenericPackedTensorAccessorINS7_14TensorAccessorINS3_8ArrayRefIlEET_Lm4ENS6_16DefaultPtrTraitsElEENS_6detail16IndexBoundsCheckILm5ElEESC_Lm5ESD_lEENS8_INS9_ISB_KSC_Lm4ESD_lEESH_SJ_Lm5ESD_lEENS8_INS9_ISB_KlLm4ESD_lEESH_SM_Lm5ESD_lEE.num_named_barrier, 0
	.set _ZN2at6native12_GLOBAL__N_140fractional_max_pool3d_backward_out_frameIN3c104HalfEEEvN5torch10headeronly6detail27GenericPackedTensorAccessorINS7_14TensorAccessorINS3_8ArrayRefIlEET_Lm4ENS6_16DefaultPtrTraitsElEENS_6detail16IndexBoundsCheckILm5ElEESC_Lm5ESD_lEENS8_INS9_ISB_KSC_Lm4ESD_lEESH_SJ_Lm5ESD_lEENS8_INS9_ISB_KlLm4ESD_lEESH_SM_Lm5ESD_lEE.private_seg_size, 0
	.set _ZN2at6native12_GLOBAL__N_140fractional_max_pool3d_backward_out_frameIN3c104HalfEEEvN5torch10headeronly6detail27GenericPackedTensorAccessorINS7_14TensorAccessorINS3_8ArrayRefIlEET_Lm4ENS6_16DefaultPtrTraitsElEENS_6detail16IndexBoundsCheckILm5ElEESC_Lm5ESD_lEENS8_INS9_ISB_KSC_Lm4ESD_lEESH_SJ_Lm5ESD_lEENS8_INS9_ISB_KlLm4ESD_lEESH_SM_Lm5ESD_lEE.uses_vcc, 1
	.set _ZN2at6native12_GLOBAL__N_140fractional_max_pool3d_backward_out_frameIN3c104HalfEEEvN5torch10headeronly6detail27GenericPackedTensorAccessorINS7_14TensorAccessorINS3_8ArrayRefIlEET_Lm4ENS6_16DefaultPtrTraitsElEENS_6detail16IndexBoundsCheckILm5ElEESC_Lm5ESD_lEENS8_INS9_ISB_KSC_Lm4ESD_lEESH_SJ_Lm5ESD_lEENS8_INS9_ISB_KlLm4ESD_lEESH_SM_Lm5ESD_lEE.uses_flat_scratch, 0
	.set _ZN2at6native12_GLOBAL__N_140fractional_max_pool3d_backward_out_frameIN3c104HalfEEEvN5torch10headeronly6detail27GenericPackedTensorAccessorINS7_14TensorAccessorINS3_8ArrayRefIlEET_Lm4ENS6_16DefaultPtrTraitsElEENS_6detail16IndexBoundsCheckILm5ElEESC_Lm5ESD_lEENS8_INS9_ISB_KSC_Lm4ESD_lEESH_SJ_Lm5ESD_lEENS8_INS9_ISB_KlLm4ESD_lEESH_SM_Lm5ESD_lEE.has_dyn_sized_stack, 0
	.set _ZN2at6native12_GLOBAL__N_140fractional_max_pool3d_backward_out_frameIN3c104HalfEEEvN5torch10headeronly6detail27GenericPackedTensorAccessorINS7_14TensorAccessorINS3_8ArrayRefIlEET_Lm4ENS6_16DefaultPtrTraitsElEENS_6detail16IndexBoundsCheckILm5ElEESC_Lm5ESD_lEENS8_INS9_ISB_KSC_Lm4ESD_lEESH_SJ_Lm5ESD_lEENS8_INS9_ISB_KlLm4ESD_lEESH_SM_Lm5ESD_lEE.has_recursion, 0
	.set _ZN2at6native12_GLOBAL__N_140fractional_max_pool3d_backward_out_frameIN3c104HalfEEEvN5torch10headeronly6detail27GenericPackedTensorAccessorINS7_14TensorAccessorINS3_8ArrayRefIlEET_Lm4ENS6_16DefaultPtrTraitsElEENS_6detail16IndexBoundsCheckILm5ElEESC_Lm5ESD_lEENS8_INS9_ISB_KSC_Lm4ESD_lEESH_SJ_Lm5ESD_lEENS8_INS9_ISB_KlLm4ESD_lEESH_SM_Lm5ESD_lEE.has_indirect_call, 0
	.section	.AMDGPU.csdata,"",@progbits
; Kernel info:
; codeLenInByte = 5684
; TotalNumSgprs: 33
; NumVgprs: 22
; ScratchSize: 0
; MemoryBound: 0
; FloatMode: 240
; IeeeMode: 1
; LDSByteSize: 0 bytes/workgroup (compile time only)
; SGPRBlocks: 4
; VGPRBlocks: 5
; NumSGPRsForWavesPerEU: 33
; NumVGPRsForWavesPerEU: 22
; Occupancy: 10
; WaveLimiterHint : 1
; COMPUTE_PGM_RSRC2:SCRATCH_EN: 0
; COMPUTE_PGM_RSRC2:USER_SGPR: 6
; COMPUTE_PGM_RSRC2:TRAP_HANDLER: 0
; COMPUTE_PGM_RSRC2:TGID_X_EN: 1
; COMPUTE_PGM_RSRC2:TGID_Y_EN: 1
; COMPUTE_PGM_RSRC2:TGID_Z_EN: 1
; COMPUTE_PGM_RSRC2:TIDIG_COMP_CNT: 0
	.section	.text._ZN2at6native12_GLOBAL__N_140fractional_max_pool3d_backward_out_frameIN3c108BFloat16EEEvN5torch10headeronly6detail27GenericPackedTensorAccessorINS7_14TensorAccessorINS3_8ArrayRefIlEET_Lm4ENS6_16DefaultPtrTraitsElEENS_6detail16IndexBoundsCheckILm5ElEESC_Lm5ESD_lEENS8_INS9_ISB_KSC_Lm4ESD_lEESH_SJ_Lm5ESD_lEENS8_INS9_ISB_KlLm4ESD_lEESH_SM_Lm5ESD_lEE,"axG",@progbits,_ZN2at6native12_GLOBAL__N_140fractional_max_pool3d_backward_out_frameIN3c108BFloat16EEEvN5torch10headeronly6detail27GenericPackedTensorAccessorINS7_14TensorAccessorINS3_8ArrayRefIlEET_Lm4ENS6_16DefaultPtrTraitsElEENS_6detail16IndexBoundsCheckILm5ElEESC_Lm5ESD_lEENS8_INS9_ISB_KSC_Lm4ESD_lEESH_SJ_Lm5ESD_lEENS8_INS9_ISB_KlLm4ESD_lEESH_SM_Lm5ESD_lEE,comdat
	.globl	_ZN2at6native12_GLOBAL__N_140fractional_max_pool3d_backward_out_frameIN3c108BFloat16EEEvN5torch10headeronly6detail27GenericPackedTensorAccessorINS7_14TensorAccessorINS3_8ArrayRefIlEET_Lm4ENS6_16DefaultPtrTraitsElEENS_6detail16IndexBoundsCheckILm5ElEESC_Lm5ESD_lEENS8_INS9_ISB_KSC_Lm4ESD_lEESH_SJ_Lm5ESD_lEENS8_INS9_ISB_KlLm4ESD_lEESH_SM_Lm5ESD_lEE ; -- Begin function _ZN2at6native12_GLOBAL__N_140fractional_max_pool3d_backward_out_frameIN3c108BFloat16EEEvN5torch10headeronly6detail27GenericPackedTensorAccessorINS7_14TensorAccessorINS3_8ArrayRefIlEET_Lm4ENS6_16DefaultPtrTraitsElEENS_6detail16IndexBoundsCheckILm5ElEESC_Lm5ESD_lEENS8_INS9_ISB_KSC_Lm4ESD_lEESH_SJ_Lm5ESD_lEENS8_INS9_ISB_KlLm4ESD_lEESH_SM_Lm5ESD_lEE
	.p2align	8
	.type	_ZN2at6native12_GLOBAL__N_140fractional_max_pool3d_backward_out_frameIN3c108BFloat16EEEvN5torch10headeronly6detail27GenericPackedTensorAccessorINS7_14TensorAccessorINS3_8ArrayRefIlEET_Lm4ENS6_16DefaultPtrTraitsElEENS_6detail16IndexBoundsCheckILm5ElEESC_Lm5ESD_lEENS8_INS9_ISB_KSC_Lm4ESD_lEESH_SJ_Lm5ESD_lEENS8_INS9_ISB_KlLm4ESD_lEESH_SM_Lm5ESD_lEE,@function
_ZN2at6native12_GLOBAL__N_140fractional_max_pool3d_backward_out_frameIN3c108BFloat16EEEvN5torch10headeronly6detail27GenericPackedTensorAccessorINS7_14TensorAccessorINS3_8ArrayRefIlEET_Lm4ENS6_16DefaultPtrTraitsElEENS_6detail16IndexBoundsCheckILm5ElEESC_Lm5ESD_lEENS8_INS9_ISB_KSC_Lm4ESD_lEESH_SJ_Lm5ESD_lEENS8_INS9_ISB_KlLm4ESD_lEESH_SM_Lm5ESD_lEE: ; @_ZN2at6native12_GLOBAL__N_140fractional_max_pool3d_backward_out_frameIN3c108BFloat16EEEvN5torch10headeronly6detail27GenericPackedTensorAccessorINS7_14TensorAccessorINS3_8ArrayRefIlEET_Lm4ENS6_16DefaultPtrTraitsElEENS_6detail16IndexBoundsCheckILm5ElEESC_Lm5ESD_lEENS8_INS9_ISB_KSC_Lm4ESD_lEESH_SJ_Lm5ESD_lEENS8_INS9_ISB_KlLm4ESD_lEESH_SM_Lm5ESD_lEE
; %bb.0:
	s_load_dword s0, s[4:5], 0x114
	s_load_dwordx4 s[12:15], s[4:5], 0x70
	s_load_dwordx2 s[10:11], s[4:5], 0x80
	v_mov_b32_e32 v2, 0
	v_mov_b32_e32 v1, v2
	;; [unrolled: 1-line block ×3, first 2 shown]
	s_waitcnt lgkmcnt(0)
	s_and_b32 s0, s0, 0xffff
	v_mad_u64_u32 v[4:5], s[0:1], s0, v3, v[0:1]
	s_mul_i32 s0, s10, s15
	s_mul_hi_u32 s1, s10, s14
	s_add_i32 s9, s1, s0
	s_mul_i32 s0, s11, s14
	s_mul_i32 s6, s10, s14
	s_add_i32 s9, s9, s0
	s_mul_i32 s0, s6, s13
	s_mul_hi_u32 s1, s6, s12
	s_add_i32 s0, s1, s0
	s_mul_i32 s1, s9, s12
	s_add_i32 s1, s0, s1
	s_mul_i32 s0, s6, s12
	v_cmp_gt_i64_e32 vcc, s[0:1], v[4:5]
	s_and_saveexec_b64 s[0:1], vcc
	s_cbranch_execz .LBB3_35
; %bb.1:
	v_or_b32_e32 v3, s11, v5
	v_cmp_ne_u64_e32 vcc, 0, v[2:3]
                                        ; implicit-def: $vgpr6_vgpr7
	s_and_saveexec_b64 s[0:1], vcc
	s_xor_b64 s[2:3], exec, s[0:1]
	s_cbranch_execz .LBB3_3
; %bb.2:
	s_ashr_i32 s12, s11, 31
	s_add_u32 s0, s10, s12
	s_mov_b32 s13, s12
	s_addc_u32 s1, s11, s12
	s_xor_b64 s[16:17], s[0:1], s[12:13]
	v_cvt_f32_u32_e32 v0, s16
	v_cvt_f32_u32_e32 v1, s17
	s_sub_u32 s13, 0, s16
	s_subb_u32 s18, 0, s17
	v_ashrrev_i32_e32 v6, 31, v5
	v_madmk_f32 v0, v1, 0x4f800000, v0
	v_rcp_f32_e32 v0, v0
	v_mul_f32_e32 v0, 0x5f7ffffc, v0
	v_mul_f32_e32 v1, 0x2f800000, v0
	v_trunc_f32_e32 v1, v1
	v_madmk_f32 v0, v1, 0xcf800000, v0
	v_cvt_u32_f32_e32 v1, v1
	v_cvt_u32_f32_e32 v0, v0
	v_readfirstlane_b32 s19, v1
	v_readfirstlane_b32 s0, v0
	s_mul_i32 s1, s13, s19
	s_mul_hi_u32 s21, s13, s0
	s_mul_i32 s20, s18, s0
	s_add_i32 s1, s21, s1
	s_add_i32 s1, s1, s20
	s_mul_i32 s22, s13, s0
	s_mul_i32 s21, s0, s1
	s_mul_hi_u32 s23, s0, s22
	s_mul_hi_u32 s20, s0, s1
	s_add_u32 s21, s23, s21
	s_addc_u32 s20, 0, s20
	s_mul_hi_u32 s24, s19, s22
	s_mul_i32 s22, s19, s22
	s_add_u32 s21, s21, s22
	s_mul_hi_u32 s23, s19, s1
	s_addc_u32 s20, s20, s24
	s_addc_u32 s21, s23, 0
	s_mul_i32 s1, s19, s1
	s_add_u32 s1, s20, s1
	s_addc_u32 s20, 0, s21
	s_add_u32 s21, s0, s1
	s_cselect_b64 s[0:1], -1, 0
	s_cmp_lg_u64 s[0:1], 0
	s_addc_u32 s19, s19, s20
	s_mul_i32 s0, s13, s19
	s_mul_hi_u32 s1, s13, s21
	s_add_i32 s0, s1, s0
	s_mul_i32 s18, s18, s21
	s_add_i32 s0, s0, s18
	s_mul_i32 s13, s13, s21
	s_mul_hi_u32 s18, s19, s13
	s_mul_i32 s20, s19, s13
	s_mul_i32 s23, s21, s0
	s_mul_hi_u32 s13, s21, s13
	s_mul_hi_u32 s22, s21, s0
	s_add_u32 s13, s13, s23
	s_addc_u32 s22, 0, s22
	s_add_u32 s13, s13, s20
	s_mul_hi_u32 s1, s19, s0
	s_addc_u32 s13, s22, s18
	s_addc_u32 s1, s1, 0
	s_mul_i32 s0, s19, s0
	s_add_u32 s0, s13, s0
	s_addc_u32 s13, 0, s1
	s_add_u32 s18, s21, s0
	s_cselect_b64 s[0:1], -1, 0
	s_cmp_lg_u64 s[0:1], 0
	v_add_co_u32_e32 v0, vcc, v4, v6
	s_addc_u32 s13, s19, s13
	v_xor_b32_e32 v7, v0, v6
	v_mad_u64_u32 v[0:1], s[0:1], v7, s13, 0
	v_mul_hi_u32 v3, v7, s18
	v_addc_co_u32_e32 v2, vcc, v5, v6, vcc
	v_xor_b32_e32 v8, v2, v6
	v_add_co_u32_e32 v9, vcc, v3, v0
	v_addc_co_u32_e32 v10, vcc, 0, v1, vcc
	v_mad_u64_u32 v[0:1], s[0:1], v8, s18, 0
	v_mad_u64_u32 v[2:3], s[0:1], v8, s13, 0
	v_add_co_u32_e32 v0, vcc, v9, v0
	v_addc_co_u32_e32 v0, vcc, v10, v1, vcc
	v_addc_co_u32_e32 v1, vcc, 0, v3, vcc
	v_add_co_u32_e32 v2, vcc, v0, v2
	v_addc_co_u32_e32 v3, vcc, 0, v1, vcc
	v_mul_lo_u32 v9, s17, v2
	v_mul_lo_u32 v10, s16, v3
	v_mad_u64_u32 v[0:1], s[0:1], s16, v2, 0
	v_add3_u32 v1, v1, v10, v9
	v_sub_u32_e32 v9, v8, v1
	v_mov_b32_e32 v10, s17
	v_sub_co_u32_e32 v0, vcc, v7, v0
	v_subb_co_u32_e64 v7, s[0:1], v9, v10, vcc
	v_subrev_co_u32_e64 v9, s[0:1], s16, v0
	v_subbrev_co_u32_e64 v7, s[0:1], 0, v7, s[0:1]
	v_cmp_le_u32_e64 s[0:1], s17, v7
	v_cndmask_b32_e64 v10, 0, -1, s[0:1]
	v_cmp_le_u32_e64 s[0:1], s16, v9
	v_cndmask_b32_e64 v9, 0, -1, s[0:1]
	v_cmp_eq_u32_e64 s[0:1], s17, v7
	v_cndmask_b32_e64 v7, v10, v9, s[0:1]
	v_add_co_u32_e64 v9, s[0:1], 2, v2
	v_subb_co_u32_e32 v1, vcc, v8, v1, vcc
	v_addc_co_u32_e64 v10, s[0:1], 0, v3, s[0:1]
	v_cmp_le_u32_e32 vcc, s17, v1
	v_add_co_u32_e64 v11, s[0:1], 1, v2
	v_cndmask_b32_e64 v8, 0, -1, vcc
	v_cmp_le_u32_e32 vcc, s16, v0
	v_addc_co_u32_e64 v12, s[0:1], 0, v3, s[0:1]
	v_cndmask_b32_e64 v0, 0, -1, vcc
	v_cmp_eq_u32_e32 vcc, s17, v1
	v_cmp_ne_u32_e64 s[0:1], 0, v7
	v_cndmask_b32_e32 v0, v8, v0, vcc
	v_cmp_ne_u32_e32 vcc, 0, v0
	v_cndmask_b32_e64 v1, v11, v9, s[0:1]
	v_cndmask_b32_e64 v7, v12, v10, s[0:1]
	v_cndmask_b32_e32 v1, v2, v1, vcc
	v_xor_b32_e32 v2, s12, v6
	v_cndmask_b32_e32 v0, v3, v7, vcc
	v_xor_b32_e32 v1, v1, v2
	v_xor_b32_e32 v0, v0, v2
	v_sub_co_u32_e32 v6, vcc, v1, v2
	v_subb_co_u32_e32 v7, vcc, v0, v2, vcc
.LBB3_3:
	s_andn2_saveexec_b64 s[0:1], s[2:3]
	s_cbranch_execz .LBB3_5
; %bb.4:
	v_cvt_f32_u32_e32 v0, s10
	s_sub_i32 s2, 0, s10
	v_mov_b32_e32 v7, 0
	v_rcp_iflag_f32_e32 v0, v0
	v_mul_f32_e32 v0, 0x4f7ffffe, v0
	v_cvt_u32_f32_e32 v0, v0
	v_mul_lo_u32 v1, s2, v0
	v_mul_hi_u32 v1, v0, v1
	v_add_u32_e32 v0, v0, v1
	v_mul_hi_u32 v0, v4, v0
	v_mul_lo_u32 v1, v0, s10
	v_add_u32_e32 v2, 1, v0
	v_sub_u32_e32 v1, v4, v1
	v_subrev_u32_e32 v3, s10, v1
	v_cmp_le_u32_e32 vcc, s10, v1
	v_cndmask_b32_e32 v1, v1, v3, vcc
	v_cndmask_b32_e32 v0, v0, v2, vcc
	v_add_u32_e32 v2, 1, v0
	v_cmp_le_u32_e32 vcc, s10, v1
	v_cndmask_b32_e32 v6, v0, v2, vcc
.LBB3_5:
	s_or_b64 exec, exec, s[0:1]
	v_or_b32_e32 v1, s15, v7
	v_mov_b32_e32 v0, 0
	v_cmp_ne_u64_e32 vcc, 0, v[0:1]
                                        ; implicit-def: $vgpr0_vgpr1
	s_and_saveexec_b64 s[0:1], vcc
	s_xor_b64 s[12:13], exec, s[0:1]
	s_cbranch_execz .LBB3_7
; %bb.6:
	s_ashr_i32 s0, s15, 31
	s_add_u32 s2, s14, s0
	s_mov_b32 s1, s0
	s_addc_u32 s3, s15, s0
	s_xor_b64 s[16:17], s[2:3], s[0:1]
	v_cvt_f32_u32_e32 v0, s16
	v_cvt_f32_u32_e32 v1, s17
	s_sub_u32 s2, 0, s16
	s_subb_u32 s3, 0, s17
	v_ashrrev_i32_e32 v8, 31, v7
	v_madmk_f32 v0, v1, 0x4f800000, v0
	v_rcp_f32_e32 v0, v0
	v_mul_f32_e32 v0, 0x5f7ffffc, v0
	v_mul_f32_e32 v1, 0x2f800000, v0
	v_trunc_f32_e32 v1, v1
	v_madmk_f32 v0, v1, 0xcf800000, v0
	v_cvt_u32_f32_e32 v1, v1
	v_cvt_u32_f32_e32 v0, v0
	v_readfirstlane_b32 s15, v1
	v_readfirstlane_b32 s0, v0
	s_mul_i32 s1, s2, s15
	s_mul_hi_u32 s19, s2, s0
	s_mul_i32 s18, s3, s0
	s_add_i32 s1, s19, s1
	s_add_i32 s1, s1, s18
	s_mul_i32 s20, s2, s0
	s_mul_i32 s19, s0, s1
	s_mul_hi_u32 s21, s0, s20
	s_mul_hi_u32 s18, s0, s1
	s_add_u32 s19, s21, s19
	s_addc_u32 s18, 0, s18
	s_mul_hi_u32 s22, s15, s20
	s_mul_i32 s20, s15, s20
	s_add_u32 s19, s19, s20
	s_mul_hi_u32 s21, s15, s1
	s_addc_u32 s18, s18, s22
	s_addc_u32 s19, s21, 0
	s_mul_i32 s1, s15, s1
	s_add_u32 s1, s18, s1
	s_addc_u32 s18, 0, s19
	s_add_u32 s19, s0, s1
	s_cselect_b64 s[0:1], -1, 0
	s_cmp_lg_u64 s[0:1], 0
	s_addc_u32 s15, s15, s18
	s_mul_i32 s0, s2, s15
	s_mul_hi_u32 s1, s2, s19
	s_add_i32 s0, s1, s0
	s_mul_i32 s3, s3, s19
	s_add_i32 s0, s0, s3
	s_mul_i32 s2, s2, s19
	s_mul_hi_u32 s3, s15, s2
	s_mul_i32 s18, s15, s2
	s_mul_i32 s21, s19, s0
	s_mul_hi_u32 s2, s19, s2
	s_mul_hi_u32 s20, s19, s0
	s_add_u32 s2, s2, s21
	s_addc_u32 s20, 0, s20
	s_add_u32 s2, s2, s18
	s_mul_hi_u32 s1, s15, s0
	s_addc_u32 s2, s20, s3
	s_addc_u32 s1, s1, 0
	s_mul_i32 s0, s15, s0
	s_add_u32 s0, s2, s0
	s_addc_u32 s2, 0, s1
	s_add_u32 s3, s19, s0
	s_cselect_b64 s[0:1], -1, 0
	s_cmp_lg_u64 s[0:1], 0
	v_add_co_u32_e32 v0, vcc, v6, v8
	s_addc_u32 s2, s15, s2
	v_xor_b32_e32 v9, v0, v8
	v_mad_u64_u32 v[0:1], s[0:1], v9, s2, 0
	v_mul_hi_u32 v3, v9, s3
	v_addc_co_u32_e32 v2, vcc, v7, v8, vcc
	v_xor_b32_e32 v10, v2, v8
	v_add_co_u32_e32 v11, vcc, v3, v0
	v_addc_co_u32_e32 v12, vcc, 0, v1, vcc
	v_mad_u64_u32 v[0:1], s[0:1], v10, s3, 0
	v_mad_u64_u32 v[2:3], s[0:1], v10, s2, 0
	v_add_co_u32_e32 v0, vcc, v11, v0
	v_addc_co_u32_e32 v0, vcc, v12, v1, vcc
	v_addc_co_u32_e32 v1, vcc, 0, v3, vcc
	v_add_co_u32_e32 v0, vcc, v0, v2
	v_addc_co_u32_e32 v1, vcc, 0, v1, vcc
	v_mul_lo_u32 v2, s17, v0
	v_mul_lo_u32 v3, s16, v1
	v_mad_u64_u32 v[0:1], s[0:1], s16, v0, 0
	v_add3_u32 v1, v1, v3, v2
	v_sub_u32_e32 v2, v10, v1
	v_mov_b32_e32 v3, s17
	v_sub_co_u32_e32 v0, vcc, v9, v0
	v_subb_co_u32_e64 v2, s[0:1], v2, v3, vcc
	v_subrev_co_u32_e64 v9, s[0:1], s16, v0
	v_subbrev_co_u32_e64 v11, s[2:3], 0, v2, s[0:1]
	v_cmp_le_u32_e64 s[2:3], s17, v11
	v_cndmask_b32_e64 v12, 0, -1, s[2:3]
	v_cmp_le_u32_e64 s[2:3], s16, v9
	v_subb_co_u32_e64 v2, s[0:1], v2, v3, s[0:1]
	v_cndmask_b32_e64 v13, 0, -1, s[2:3]
	v_cmp_eq_u32_e64 s[2:3], s17, v11
	v_subrev_co_u32_e64 v3, s[0:1], s16, v9
	v_subb_co_u32_e32 v1, vcc, v10, v1, vcc
	v_cndmask_b32_e64 v12, v12, v13, s[2:3]
	v_subbrev_co_u32_e64 v2, s[0:1], 0, v2, s[0:1]
	v_cmp_le_u32_e32 vcc, s17, v1
	v_cmp_ne_u32_e64 s[0:1], 0, v12
	v_cndmask_b32_e64 v10, 0, -1, vcc
	v_cmp_le_u32_e32 vcc, s16, v0
	v_cndmask_b32_e64 v2, v11, v2, s[0:1]
	v_cndmask_b32_e64 v11, 0, -1, vcc
	v_cmp_eq_u32_e32 vcc, s17, v1
	v_cndmask_b32_e32 v10, v10, v11, vcc
	v_cmp_ne_u32_e32 vcc, 0, v10
	v_cndmask_b32_e32 v1, v1, v2, vcc
	v_cndmask_b32_e64 v2, v9, v3, s[0:1]
	v_cndmask_b32_e32 v0, v0, v2, vcc
	v_xor_b32_e32 v0, v0, v8
	v_xor_b32_e32 v1, v1, v8
	v_sub_co_u32_e32 v0, vcc, v0, v8
	v_subb_co_u32_e32 v1, vcc, v1, v8, vcc
.LBB3_7:
	s_andn2_saveexec_b64 s[0:1], s[12:13]
	s_cbranch_execz .LBB3_9
; %bb.8:
	v_cvt_f32_u32_e32 v0, s14
	s_sub_i32 s2, 0, s14
	v_rcp_iflag_f32_e32 v0, v0
	v_mul_f32_e32 v0, 0x4f7ffffe, v0
	v_cvt_u32_f32_e32 v0, v0
	v_mul_lo_u32 v1, s2, v0
	v_mul_hi_u32 v1, v0, v1
	v_add_u32_e32 v0, v0, v1
	v_mul_hi_u32 v0, v6, v0
	v_mul_lo_u32 v0, v0, s14
	v_sub_u32_e32 v0, v6, v0
	v_subrev_u32_e32 v1, s14, v0
	v_cmp_le_u32_e32 vcc, s14, v0
	v_cndmask_b32_e32 v0, v0, v1, vcc
	v_subrev_u32_e32 v1, s14, v0
	v_cmp_le_u32_e32 vcc, s14, v0
	v_cndmask_b32_e32 v0, v0, v1, vcc
	v_mov_b32_e32 v1, 0
.LBB3_9:
	s_or_b64 exec, exec, s[0:1]
	v_or_b32_e32 v3, s9, v5
	v_mov_b32_e32 v2, 0
	v_cmp_ne_u64_e32 vcc, 0, v[2:3]
                                        ; implicit-def: $vgpr2_vgpr3
	s_and_saveexec_b64 s[0:1], vcc
	s_xor_b64 s[2:3], exec, s[0:1]
	s_cbranch_execz .LBB3_11
; %bb.10:
	s_ashr_i32 s12, s9, 31
	s_add_u32 s0, s6, s12
	s_mov_b32 s13, s12
	s_addc_u32 s1, s9, s12
	s_xor_b64 s[14:15], s[0:1], s[12:13]
	v_cvt_f32_u32_e32 v2, s14
	v_cvt_f32_u32_e32 v3, s15
	s_sub_u32 s9, 0, s14
	s_subb_u32 s13, 0, s15
	v_ashrrev_i32_e32 v10, 31, v5
	v_madmk_f32 v2, v3, 0x4f800000, v2
	v_rcp_f32_e32 v2, v2
	v_mul_f32_e32 v2, 0x5f7ffffc, v2
	v_mul_f32_e32 v3, 0x2f800000, v2
	v_trunc_f32_e32 v3, v3
	v_madmk_f32 v2, v3, 0xcf800000, v2
	v_cvt_u32_f32_e32 v3, v3
	v_cvt_u32_f32_e32 v2, v2
	v_readfirstlane_b32 s16, v3
	v_readfirstlane_b32 s0, v2
	s_mul_i32 s1, s9, s16
	s_mul_hi_u32 s18, s9, s0
	s_mul_i32 s17, s13, s0
	s_add_i32 s1, s18, s1
	s_add_i32 s1, s1, s17
	s_mul_i32 s19, s9, s0
	s_mul_i32 s18, s0, s1
	s_mul_hi_u32 s20, s0, s19
	s_mul_hi_u32 s17, s0, s1
	s_add_u32 s18, s20, s18
	s_addc_u32 s17, 0, s17
	s_mul_hi_u32 s21, s16, s19
	s_mul_i32 s19, s16, s19
	s_add_u32 s18, s18, s19
	s_mul_hi_u32 s20, s16, s1
	s_addc_u32 s17, s17, s21
	s_addc_u32 s18, s20, 0
	s_mul_i32 s1, s16, s1
	s_add_u32 s1, s17, s1
	s_addc_u32 s17, 0, s18
	s_add_u32 s18, s0, s1
	s_cselect_b64 s[0:1], -1, 0
	s_cmp_lg_u64 s[0:1], 0
	s_addc_u32 s16, s16, s17
	s_mul_i32 s0, s9, s16
	s_mul_hi_u32 s1, s9, s18
	s_add_i32 s0, s1, s0
	s_mul_i32 s13, s13, s18
	s_add_i32 s0, s0, s13
	s_mul_i32 s9, s9, s18
	s_mul_hi_u32 s13, s16, s9
	s_mul_i32 s17, s16, s9
	s_mul_i32 s20, s18, s0
	s_mul_hi_u32 s9, s18, s9
	s_mul_hi_u32 s19, s18, s0
	s_add_u32 s9, s9, s20
	s_addc_u32 s19, 0, s19
	s_add_u32 s9, s9, s17
	s_mul_hi_u32 s1, s16, s0
	s_addc_u32 s9, s19, s13
	s_addc_u32 s1, s1, 0
	s_mul_i32 s0, s16, s0
	s_add_u32 s0, s9, s0
	s_addc_u32 s9, 0, s1
	s_add_u32 s13, s18, s0
	s_cselect_b64 s[0:1], -1, 0
	s_cmp_lg_u64 s[0:1], 0
	v_add_co_u32_e32 v2, vcc, v4, v10
	s_addc_u32 s9, s16, s9
	v_xor_b32_e32 v11, v2, v10
	v_mad_u64_u32 v[2:3], s[0:1], v11, s9, 0
	v_mul_hi_u32 v9, v11, s13
	v_addc_co_u32_e32 v8, vcc, v5, v10, vcc
	v_xor_b32_e32 v12, v8, v10
	v_add_co_u32_e32 v13, vcc, v9, v2
	v_addc_co_u32_e32 v14, vcc, 0, v3, vcc
	v_mad_u64_u32 v[2:3], s[0:1], v12, s13, 0
	v_mad_u64_u32 v[8:9], s[0:1], v12, s9, 0
	v_add_co_u32_e32 v2, vcc, v13, v2
	v_addc_co_u32_e32 v2, vcc, v14, v3, vcc
	v_addc_co_u32_e32 v3, vcc, 0, v9, vcc
	v_add_co_u32_e32 v8, vcc, v2, v8
	v_addc_co_u32_e32 v9, vcc, 0, v3, vcc
	v_mul_lo_u32 v13, s15, v8
	v_mul_lo_u32 v14, s14, v9
	v_mad_u64_u32 v[2:3], s[0:1], s14, v8, 0
	v_add3_u32 v3, v3, v14, v13
	v_sub_u32_e32 v13, v12, v3
	v_mov_b32_e32 v14, s15
	v_sub_co_u32_e32 v2, vcc, v11, v2
	v_subb_co_u32_e64 v11, s[0:1], v13, v14, vcc
	v_subrev_co_u32_e64 v13, s[0:1], s14, v2
	v_subbrev_co_u32_e64 v11, s[0:1], 0, v11, s[0:1]
	v_cmp_le_u32_e64 s[0:1], s15, v11
	v_cndmask_b32_e64 v14, 0, -1, s[0:1]
	v_cmp_le_u32_e64 s[0:1], s14, v13
	v_cndmask_b32_e64 v13, 0, -1, s[0:1]
	v_cmp_eq_u32_e64 s[0:1], s15, v11
	v_cndmask_b32_e64 v11, v14, v13, s[0:1]
	v_add_co_u32_e64 v13, s[0:1], 2, v8
	v_subb_co_u32_e32 v3, vcc, v12, v3, vcc
	v_addc_co_u32_e64 v14, s[0:1], 0, v9, s[0:1]
	v_cmp_le_u32_e32 vcc, s15, v3
	v_add_co_u32_e64 v15, s[0:1], 1, v8
	v_cndmask_b32_e64 v12, 0, -1, vcc
	v_cmp_le_u32_e32 vcc, s14, v2
	v_addc_co_u32_e64 v16, s[0:1], 0, v9, s[0:1]
	v_cndmask_b32_e64 v2, 0, -1, vcc
	v_cmp_eq_u32_e32 vcc, s15, v3
	v_cmp_ne_u32_e64 s[0:1], 0, v11
	v_cndmask_b32_e32 v2, v12, v2, vcc
	v_cndmask_b32_e64 v11, v16, v14, s[0:1]
	v_cmp_ne_u32_e32 vcc, 0, v2
	v_cndmask_b32_e64 v3, v15, v13, s[0:1]
	v_cndmask_b32_e32 v2, v9, v11, vcc
	v_cndmask_b32_e32 v3, v8, v3, vcc
	v_xor_b32_e32 v8, s12, v10
	v_xor_b32_e32 v9, v2, v8
	;; [unrolled: 1-line block ×3, first 2 shown]
	v_sub_co_u32_e32 v2, vcc, v2, v8
	v_subb_co_u32_e32 v3, vcc, v9, v8, vcc
.LBB3_11:
	s_andn2_saveexec_b64 s[0:1], s[2:3]
	s_cbranch_execz .LBB3_13
; %bb.12:
	v_cvt_f32_u32_e32 v2, s6
	s_sub_i32 s2, 0, s6
	v_rcp_iflag_f32_e32 v2, v2
	v_mul_f32_e32 v2, 0x4f7ffffe, v2
	v_cvt_u32_f32_e32 v2, v2
	v_mul_lo_u32 v3, s2, v2
	v_mul_hi_u32 v3, v2, v3
	v_add_u32_e32 v2, v2, v3
	v_mul_hi_u32 v2, v4, v2
	v_mul_lo_u32 v3, v2, s6
	v_add_u32_e32 v8, 1, v2
	v_sub_u32_e32 v3, v4, v3
	v_subrev_u32_e32 v9, s6, v3
	v_cmp_le_u32_e32 vcc, s6, v3
	v_cndmask_b32_e32 v3, v3, v9, vcc
	v_cndmask_b32_e32 v2, v2, v8, vcc
	v_add_u32_e32 v8, 1, v2
	v_cmp_le_u32_e32 vcc, s6, v3
	v_cndmask_b32_e32 v2, v2, v8, vcc
	v_mov_b32_e32 v3, 0
.LBB3_13:
	s_or_b64 exec, exec, s[0:1]
	s_load_dwordx8 s[12:19], s[4:5], 0xe0
	v_mul_lo_u32 v8, v7, s10
	v_mul_lo_u32 v9, v6, s11
	v_mad_u64_u32 v[6:7], s[0:1], v6, s10, 0
	s_load_dwordx2 s[0:1], s[4:5], 0x100
	s_load_dwordx2 s[2:3], s[4:5], 0xb0
	s_waitcnt lgkmcnt(0)
	s_mul_i32 s6, s13, s8
	s_mul_hi_u32 s9, s12, s8
	s_add_i32 s11, s9, s6
	s_mul_i32 s10, s12, s8
	s_lshl_b64 s[10:11], s[10:11], 3
	s_add_u32 s6, s2, s10
	v_add3_u32 v7, v7, v9, v8
	v_sub_co_u32_e32 v12, vcc, v4, v6
	s_addc_u32 s9, s3, s11
	s_mul_i32 s2, s15, s7
	s_mul_hi_u32 s3, s14, s7
	v_subb_co_u32_e32 v13, vcc, v5, v7, vcc
	s_add_i32 s3, s3, s2
	s_mul_i32 s2, s14, s7
	v_mul_lo_u32 v6, s17, v2
	v_mul_lo_u32 v7, s16, v3
	v_mad_u64_u32 v[4:5], s[10:11], s16, v2, 0
	s_lshl_b64 s[2:3], s[2:3], 3
	s_add_u32 s6, s6, s2
	s_addc_u32 s2, s9, s3
	v_add3_u32 v5, v5, v7, v6
	v_mov_b32_e32 v8, s2
	v_mul_lo_u32 v9, s19, v0
	v_mul_lo_u32 v10, s18, v1
	v_mad_u64_u32 v[6:7], s[2:3], s18, v0, 0
	v_lshlrev_b64 v[4:5], 3, v[4:5]
	v_add_co_u32_e32 v11, vcc, s6, v4
	v_add3_u32 v7, v7, v10, v9
	v_addc_co_u32_e32 v8, vcc, v8, v5, vcc
	v_lshlrev_b64 v[4:5], 3, v[6:7]
	v_mul_lo_u32 v9, s1, v12
	v_mul_lo_u32 v10, s0, v13
	v_mad_u64_u32 v[6:7], s[0:1], s0, v12, 0
	v_add_co_u32_e32 v11, vcc, v11, v4
	v_add3_u32 v7, v7, v10, v9
	v_addc_co_u32_e32 v8, vcc, v8, v5, vcc
	v_lshlrev_b64 v[4:5], 3, v[6:7]
	s_mov_b64 s[0:1], 0
	v_add_co_u32_e32 v4, vcc, v11, v4
	v_addc_co_u32_e32 v5, vcc, v8, v5, vcc
	global_load_dwordx2 v[4:5], v[4:5], off
	s_waitcnt vmcnt(0)
	v_cmp_lt_i64_e32 vcc, -1, v[4:5]
	s_and_saveexec_b64 s[2:3], vcc
	s_xor_b64 s[10:11], exec, s[2:3]
	s_cbranch_execz .LBB3_32
; %bb.14:
	s_load_dwordx4 s[12:15], s[4:5], 0x20
	v_mov_b32_e32 v6, 0
	s_waitcnt lgkmcnt(0)
	s_mul_i32 s0, s12, s15
	s_mul_hi_u32 s1, s12, s14
	s_mul_i32 s2, s13, s14
	s_add_i32 s0, s1, s0
	s_add_i32 s0, s0, s2
	v_or_b32_e32 v7, s0, v5
	v_cmp_ne_u64_e32 vcc, 0, v[6:7]
	s_mul_i32 s6, s12, s14
                                        ; implicit-def: $vgpr6_vgpr7
	s_and_saveexec_b64 s[2:3], vcc
	s_xor_b64 s[2:3], exec, s[2:3]
	s_cbranch_execz .LBB3_16
; %bb.15:
	s_ashr_i32 s16, s0, 31
	s_add_u32 s18, s6, s16
	s_mov_b32 s17, s16
	s_addc_u32 s19, s0, s16
	s_xor_b64 s[18:19], s[18:19], s[16:17]
	v_cvt_f32_u32_e32 v6, s18
	v_cvt_f32_u32_e32 v7, s19
	s_sub_u32 s9, 0, s18
	s_subb_u32 s17, 0, s19
	v_ashrrev_i32_e32 v10, 31, v5
	v_madmk_f32 v6, v7, 0x4f800000, v6
	v_rcp_f32_e32 v6, v6
	v_mul_f32_e32 v6, 0x5f7ffffc, v6
	v_mul_f32_e32 v7, 0x2f800000, v6
	v_trunc_f32_e32 v7, v7
	v_madmk_f32 v6, v7, 0xcf800000, v6
	v_cvt_u32_f32_e32 v7, v7
	v_cvt_u32_f32_e32 v6, v6
	v_readfirstlane_b32 s20, v7
	v_readfirstlane_b32 s0, v6
	s_mul_i32 s1, s9, s20
	s_mul_hi_u32 s22, s9, s0
	s_mul_i32 s21, s17, s0
	s_add_i32 s1, s22, s1
	s_add_i32 s1, s1, s21
	s_mul_i32 s23, s9, s0
	s_mul_i32 s22, s0, s1
	s_mul_hi_u32 s24, s0, s23
	s_mul_hi_u32 s21, s0, s1
	s_add_u32 s22, s24, s22
	s_addc_u32 s21, 0, s21
	s_mul_hi_u32 s25, s20, s23
	s_mul_i32 s23, s20, s23
	s_add_u32 s22, s22, s23
	s_mul_hi_u32 s24, s20, s1
	s_addc_u32 s21, s21, s25
	s_addc_u32 s22, s24, 0
	s_mul_i32 s1, s20, s1
	s_add_u32 s1, s21, s1
	s_addc_u32 s21, 0, s22
	s_add_u32 s22, s0, s1
	s_cselect_b64 s[0:1], -1, 0
	s_cmp_lg_u64 s[0:1], 0
	s_addc_u32 s20, s20, s21
	s_mul_i32 s0, s9, s20
	s_mul_hi_u32 s1, s9, s22
	s_add_i32 s0, s1, s0
	s_mul_i32 s17, s17, s22
	s_add_i32 s0, s0, s17
	s_mul_i32 s9, s9, s22
	s_mul_hi_u32 s17, s20, s9
	s_mul_i32 s21, s20, s9
	s_mul_i32 s24, s22, s0
	s_mul_hi_u32 s9, s22, s9
	s_mul_hi_u32 s23, s22, s0
	s_add_u32 s9, s9, s24
	s_addc_u32 s23, 0, s23
	s_add_u32 s9, s9, s21
	s_mul_hi_u32 s1, s20, s0
	s_addc_u32 s9, s23, s17
	s_addc_u32 s1, s1, 0
	s_mul_i32 s0, s20, s0
	s_add_u32 s0, s9, s0
	s_addc_u32 s9, 0, s1
	s_add_u32 s17, s22, s0
	s_cselect_b64 s[0:1], -1, 0
	s_cmp_lg_u64 s[0:1], 0
	v_add_co_u32_e32 v6, vcc, v4, v10
	s_addc_u32 s9, s20, s9
	v_xor_b32_e32 v11, v6, v10
	v_mad_u64_u32 v[6:7], s[0:1], v11, s9, 0
	v_mul_hi_u32 v9, v11, s17
	v_addc_co_u32_e32 v8, vcc, v5, v10, vcc
	v_xor_b32_e32 v14, v8, v10
	v_add_co_u32_e32 v15, vcc, v9, v6
	v_addc_co_u32_e32 v16, vcc, 0, v7, vcc
	v_mad_u64_u32 v[6:7], s[0:1], v14, s17, 0
	v_mad_u64_u32 v[8:9], s[0:1], v14, s9, 0
	v_add_co_u32_e32 v6, vcc, v15, v6
	v_addc_co_u32_e32 v6, vcc, v16, v7, vcc
	v_addc_co_u32_e32 v7, vcc, 0, v9, vcc
	v_add_co_u32_e32 v8, vcc, v6, v8
	v_addc_co_u32_e32 v9, vcc, 0, v7, vcc
	v_mul_lo_u32 v15, s19, v8
	v_mul_lo_u32 v16, s18, v9
	v_mad_u64_u32 v[6:7], s[0:1], s18, v8, 0
	v_add3_u32 v7, v7, v16, v15
	v_sub_u32_e32 v15, v14, v7
	v_mov_b32_e32 v16, s19
	v_sub_co_u32_e32 v6, vcc, v11, v6
	v_subb_co_u32_e64 v11, s[0:1], v15, v16, vcc
	v_subrev_co_u32_e64 v15, s[0:1], s18, v6
	v_subbrev_co_u32_e64 v11, s[0:1], 0, v11, s[0:1]
	v_cmp_le_u32_e64 s[0:1], s19, v11
	v_cndmask_b32_e64 v16, 0, -1, s[0:1]
	v_cmp_le_u32_e64 s[0:1], s18, v15
	v_cndmask_b32_e64 v15, 0, -1, s[0:1]
	v_cmp_eq_u32_e64 s[0:1], s19, v11
	v_cndmask_b32_e64 v11, v16, v15, s[0:1]
	v_add_co_u32_e64 v15, s[0:1], 2, v8
	v_subb_co_u32_e32 v7, vcc, v14, v7, vcc
	v_addc_co_u32_e64 v16, s[0:1], 0, v9, s[0:1]
	v_cmp_le_u32_e32 vcc, s19, v7
	v_add_co_u32_e64 v17, s[0:1], 1, v8
	v_cndmask_b32_e64 v14, 0, -1, vcc
	v_cmp_le_u32_e32 vcc, s18, v6
	v_addc_co_u32_e64 v18, s[0:1], 0, v9, s[0:1]
	v_cndmask_b32_e64 v6, 0, -1, vcc
	v_cmp_eq_u32_e32 vcc, s19, v7
	v_cmp_ne_u32_e64 s[0:1], 0, v11
	v_cndmask_b32_e32 v6, v14, v6, vcc
	v_cndmask_b32_e64 v11, v18, v16, s[0:1]
	v_cmp_ne_u32_e32 vcc, 0, v6
	v_cndmask_b32_e64 v7, v17, v15, s[0:1]
	v_cndmask_b32_e32 v6, v9, v11, vcc
	v_cndmask_b32_e32 v7, v8, v7, vcc
	v_xor_b32_e32 v8, s16, v10
	v_xor_b32_e32 v9, v6, v8
	;; [unrolled: 1-line block ×3, first 2 shown]
	v_sub_co_u32_e32 v6, vcc, v6, v8
	v_subb_co_u32_e32 v7, vcc, v9, v8, vcc
.LBB3_16:
	s_andn2_saveexec_b64 s[0:1], s[2:3]
	s_cbranch_execz .LBB3_18
; %bb.17:
	v_cvt_f32_u32_e32 v6, s6
	s_sub_i32 s2, 0, s6
	v_rcp_iflag_f32_e32 v6, v6
	v_mul_f32_e32 v6, 0x4f7ffffe, v6
	v_cvt_u32_f32_e32 v6, v6
	v_mul_lo_u32 v7, s2, v6
	v_mul_hi_u32 v7, v6, v7
	v_add_u32_e32 v6, v6, v7
	v_mul_hi_u32 v6, v4, v6
	v_mul_lo_u32 v7, v6, s6
	v_add_u32_e32 v8, 1, v6
	v_sub_u32_e32 v7, v4, v7
	v_subrev_u32_e32 v9, s6, v7
	v_cmp_le_u32_e32 vcc, s6, v7
	v_cndmask_b32_e32 v7, v7, v9, vcc
	v_cndmask_b32_e32 v6, v6, v8, vcc
	v_add_u32_e32 v8, 1, v6
	v_cmp_le_u32_e32 vcc, s6, v7
	v_cndmask_b32_e32 v6, v6, v8, vcc
	v_mov_b32_e32 v7, 0
.LBB3_18:
	s_or_b64 exec, exec, s[0:1]
	s_load_dwordx2 s[0:1], s[4:5], 0x18
	s_mov_b64 s[16:17], 0
	s_waitcnt lgkmcnt(0)
	v_cmp_le_i64_e32 vcc, s[0:1], v[6:7]
	s_and_saveexec_b64 s[0:1], vcc
	s_xor_b64 s[0:1], exec, s[0:1]
	s_cbranch_execnz .LBB3_37
; %bb.19:
	s_andn2_saveexec_b64 s[18:19], s[0:1]
	s_cbranch_execz .LBB3_31
.LBB3_20:
	v_or_b32_e32 v9, s15, v5
	v_mov_b32_e32 v8, 0
	v_cmp_ne_u64_e32 vcc, 0, v[8:9]
                                        ; implicit-def: $vgpr8_vgpr9
	s_and_saveexec_b64 s[0:1], vcc
	s_xor_b64 s[2:3], exec, s[0:1]
	s_cbranch_execz .LBB3_22
; %bb.21:
	s_ashr_i32 s20, s15, 31
	s_add_u32 s0, s14, s20
	s_mov_b32 s21, s20
	s_addc_u32 s1, s15, s20
	s_xor_b64 s[22:23], s[0:1], s[20:21]
	v_cvt_f32_u32_e32 v8, s22
	v_cvt_f32_u32_e32 v9, s23
	s_sub_u32 s6, 0, s22
	s_subb_u32 s9, 0, s23
	v_ashrrev_i32_e32 v14, 31, v5
	v_madmk_f32 v8, v9, 0x4f800000, v8
	v_rcp_f32_e32 v8, v8
	v_mul_f32_e32 v8, 0x5f7ffffc, v8
	v_mul_f32_e32 v9, 0x2f800000, v8
	v_trunc_f32_e32 v9, v9
	v_madmk_f32 v8, v9, 0xcf800000, v8
	v_cvt_u32_f32_e32 v9, v9
	v_cvt_u32_f32_e32 v8, v8
	v_readfirstlane_b32 s21, v9
	v_readfirstlane_b32 s0, v8
	s_mul_i32 s1, s6, s21
	s_mul_hi_u32 s25, s6, s0
	s_mul_i32 s24, s9, s0
	s_add_i32 s1, s25, s1
	s_add_i32 s1, s1, s24
	s_mul_i32 s26, s6, s0
	s_mul_i32 s25, s0, s1
	s_mul_hi_u32 s27, s0, s26
	s_mul_hi_u32 s24, s0, s1
	s_add_u32 s25, s27, s25
	s_addc_u32 s24, 0, s24
	s_mul_hi_u32 s28, s21, s26
	s_mul_i32 s26, s21, s26
	s_add_u32 s25, s25, s26
	s_mul_hi_u32 s27, s21, s1
	s_addc_u32 s24, s24, s28
	s_addc_u32 s25, s27, 0
	s_mul_i32 s1, s21, s1
	s_add_u32 s1, s24, s1
	s_addc_u32 s24, 0, s25
	s_add_u32 s25, s0, s1
	s_cselect_b64 s[0:1], -1, 0
	s_cmp_lg_u64 s[0:1], 0
	s_addc_u32 s21, s21, s24
	s_mul_i32 s0, s6, s21
	s_mul_hi_u32 s1, s6, s25
	s_add_i32 s0, s1, s0
	s_mul_i32 s9, s9, s25
	s_add_i32 s0, s0, s9
	s_mul_i32 s6, s6, s25
	s_mul_hi_u32 s9, s21, s6
	s_mul_i32 s24, s21, s6
	s_mul_i32 s27, s25, s0
	s_mul_hi_u32 s6, s25, s6
	s_mul_hi_u32 s26, s25, s0
	s_add_u32 s6, s6, s27
	s_addc_u32 s26, 0, s26
	s_add_u32 s6, s6, s24
	s_mul_hi_u32 s1, s21, s0
	s_addc_u32 s6, s26, s9
	s_addc_u32 s1, s1, 0
	s_mul_i32 s0, s21, s0
	s_add_u32 s0, s6, s0
	s_addc_u32 s6, 0, s1
	s_add_u32 s9, s25, s0
	s_cselect_b64 s[0:1], -1, 0
	s_cmp_lg_u64 s[0:1], 0
	v_add_co_u32_e32 v8, vcc, v4, v14
	s_addc_u32 s6, s21, s6
	v_xor_b32_e32 v15, v8, v14
	v_mad_u64_u32 v[8:9], s[0:1], v15, s6, 0
	v_mul_hi_u32 v11, v15, s9
	v_addc_co_u32_e32 v10, vcc, v5, v14, vcc
	v_xor_b32_e32 v16, v10, v14
	v_add_co_u32_e32 v17, vcc, v11, v8
	v_addc_co_u32_e32 v18, vcc, 0, v9, vcc
	v_mad_u64_u32 v[8:9], s[0:1], v16, s9, 0
	v_mad_u64_u32 v[10:11], s[0:1], v16, s6, 0
	v_add_co_u32_e32 v8, vcc, v17, v8
	v_addc_co_u32_e32 v8, vcc, v18, v9, vcc
	v_addc_co_u32_e32 v9, vcc, 0, v11, vcc
	v_add_co_u32_e32 v10, vcc, v8, v10
	v_addc_co_u32_e32 v11, vcc, 0, v9, vcc
	v_mul_lo_u32 v17, s23, v10
	v_mul_lo_u32 v18, s22, v11
	v_mad_u64_u32 v[8:9], s[0:1], s22, v10, 0
	v_add3_u32 v9, v9, v18, v17
	v_sub_u32_e32 v17, v16, v9
	v_mov_b32_e32 v18, s23
	v_sub_co_u32_e32 v8, vcc, v15, v8
	v_subb_co_u32_e64 v15, s[0:1], v17, v18, vcc
	v_subrev_co_u32_e64 v17, s[0:1], s22, v8
	v_subbrev_co_u32_e64 v15, s[0:1], 0, v15, s[0:1]
	v_cmp_le_u32_e64 s[0:1], s23, v15
	v_cndmask_b32_e64 v18, 0, -1, s[0:1]
	v_cmp_le_u32_e64 s[0:1], s22, v17
	v_cndmask_b32_e64 v17, 0, -1, s[0:1]
	v_cmp_eq_u32_e64 s[0:1], s23, v15
	v_cndmask_b32_e64 v15, v18, v17, s[0:1]
	v_add_co_u32_e64 v17, s[0:1], 2, v10
	v_subb_co_u32_e32 v9, vcc, v16, v9, vcc
	v_addc_co_u32_e64 v18, s[0:1], 0, v11, s[0:1]
	v_cmp_le_u32_e32 vcc, s23, v9
	v_add_co_u32_e64 v19, s[0:1], 1, v10
	v_cndmask_b32_e64 v16, 0, -1, vcc
	v_cmp_le_u32_e32 vcc, s22, v8
	v_addc_co_u32_e64 v20, s[0:1], 0, v11, s[0:1]
	v_cndmask_b32_e64 v8, 0, -1, vcc
	v_cmp_eq_u32_e32 vcc, s23, v9
	v_cmp_ne_u32_e64 s[0:1], 0, v15
	v_cndmask_b32_e32 v8, v16, v8, vcc
	v_cndmask_b32_e64 v15, v20, v18, s[0:1]
	v_cmp_ne_u32_e32 vcc, 0, v8
	v_cndmask_b32_e64 v9, v19, v17, s[0:1]
	v_cndmask_b32_e32 v8, v11, v15, vcc
	v_cndmask_b32_e32 v9, v10, v9, vcc
	v_xor_b32_e32 v10, s20, v14
	v_xor_b32_e32 v11, v8, v10
	;; [unrolled: 1-line block ×3, first 2 shown]
	v_sub_co_u32_e32 v8, vcc, v8, v10
	v_subb_co_u32_e32 v9, vcc, v11, v10, vcc
.LBB3_22:
	s_andn2_saveexec_b64 s[0:1], s[2:3]
	s_cbranch_execz .LBB3_24
; %bb.23:
	v_cvt_f32_u32_e32 v8, s14
	s_sub_i32 s2, 0, s14
	v_rcp_iflag_f32_e32 v8, v8
	v_mul_f32_e32 v8, 0x4f7ffffe, v8
	v_cvt_u32_f32_e32 v8, v8
	v_mul_lo_u32 v9, s2, v8
	v_mul_hi_u32 v9, v8, v9
	v_add_u32_e32 v8, v8, v9
	v_mul_hi_u32 v8, v4, v8
	v_mul_lo_u32 v9, v8, s14
	v_add_u32_e32 v10, 1, v8
	v_sub_u32_e32 v9, v4, v9
	v_subrev_u32_e32 v11, s14, v9
	v_cmp_le_u32_e32 vcc, s14, v9
	v_cndmask_b32_e32 v9, v9, v11, vcc
	v_cndmask_b32_e32 v8, v8, v10, vcc
	v_add_u32_e32 v10, 1, v8
	v_cmp_le_u32_e32 vcc, s14, v9
	v_cndmask_b32_e32 v8, v8, v10, vcc
	v_mov_b32_e32 v9, 0
.LBB3_24:
	s_or_b64 exec, exec, s[0:1]
	v_or_b32_e32 v11, s13, v9
	v_mov_b32_e32 v10, 0
	v_cmp_ne_u64_e32 vcc, 0, v[10:11]
                                        ; implicit-def: $vgpr10_vgpr11
	s_and_saveexec_b64 s[0:1], vcc
	s_xor_b64 s[20:21], exec, s[0:1]
	s_cbranch_execz .LBB3_26
; %bb.25:
	s_ashr_i32 s0, s13, 31
	s_add_u32 s2, s12, s0
	s_mov_b32 s1, s0
	s_addc_u32 s3, s13, s0
	s_xor_b64 s[22:23], s[2:3], s[0:1]
	v_cvt_f32_u32_e32 v10, s22
	v_cvt_f32_u32_e32 v11, s23
	s_sub_u32 s2, 0, s22
	s_subb_u32 s3, 0, s23
	v_ashrrev_i32_e32 v16, 31, v9
	v_madmk_f32 v10, v11, 0x4f800000, v10
	v_rcp_f32_e32 v10, v10
	v_mul_f32_e32 v10, 0x5f7ffffc, v10
	v_mul_f32_e32 v11, 0x2f800000, v10
	v_trunc_f32_e32 v11, v11
	v_madmk_f32 v10, v11, 0xcf800000, v10
	v_cvt_u32_f32_e32 v11, v11
	v_cvt_u32_f32_e32 v10, v10
	v_readfirstlane_b32 s6, v11
	v_readfirstlane_b32 s0, v10
	s_mul_i32 s1, s2, s6
	s_mul_hi_u32 s13, s2, s0
	s_mul_i32 s9, s3, s0
	s_add_i32 s1, s13, s1
	s_add_i32 s1, s1, s9
	s_mul_i32 s24, s2, s0
	s_mul_i32 s13, s0, s1
	s_mul_hi_u32 s25, s0, s24
	s_mul_hi_u32 s9, s0, s1
	s_add_u32 s13, s25, s13
	s_addc_u32 s9, 0, s9
	s_mul_hi_u32 s26, s6, s24
	s_mul_i32 s24, s6, s24
	s_add_u32 s13, s13, s24
	s_mul_hi_u32 s25, s6, s1
	s_addc_u32 s9, s9, s26
	s_addc_u32 s13, s25, 0
	s_mul_i32 s1, s6, s1
	s_add_u32 s1, s9, s1
	s_addc_u32 s9, 0, s13
	s_add_u32 s13, s0, s1
	s_cselect_b64 s[0:1], -1, 0
	s_cmp_lg_u64 s[0:1], 0
	s_addc_u32 s6, s6, s9
	s_mul_i32 s0, s2, s6
	s_mul_hi_u32 s1, s2, s13
	s_add_i32 s0, s1, s0
	s_mul_i32 s3, s3, s13
	s_add_i32 s0, s0, s3
	s_mul_i32 s2, s2, s13
	s_mul_hi_u32 s3, s6, s2
	s_mul_i32 s9, s6, s2
	s_mul_i32 s25, s13, s0
	s_mul_hi_u32 s2, s13, s2
	s_mul_hi_u32 s24, s13, s0
	s_add_u32 s2, s2, s25
	s_addc_u32 s24, 0, s24
	s_add_u32 s2, s2, s9
	s_mul_hi_u32 s1, s6, s0
	s_addc_u32 s2, s24, s3
	s_addc_u32 s1, s1, 0
	s_mul_i32 s0, s6, s0
	s_add_u32 s0, s2, s0
	s_addc_u32 s2, 0, s1
	s_add_u32 s3, s13, s0
	s_cselect_b64 s[0:1], -1, 0
	s_cmp_lg_u64 s[0:1], 0
	v_add_co_u32_e32 v10, vcc, v8, v16
	s_addc_u32 s2, s6, s2
	v_xor_b32_e32 v17, v10, v16
	v_mad_u64_u32 v[10:11], s[0:1], v17, s2, 0
	v_mul_hi_u32 v15, v17, s3
	v_addc_co_u32_e32 v14, vcc, v9, v16, vcc
	v_xor_b32_e32 v18, v14, v16
	v_add_co_u32_e32 v19, vcc, v15, v10
	v_addc_co_u32_e32 v20, vcc, 0, v11, vcc
	v_mad_u64_u32 v[10:11], s[0:1], v18, s3, 0
	v_mad_u64_u32 v[14:15], s[0:1], v18, s2, 0
	v_add_co_u32_e32 v10, vcc, v19, v10
	v_addc_co_u32_e32 v10, vcc, v20, v11, vcc
	v_addc_co_u32_e32 v11, vcc, 0, v15, vcc
	v_add_co_u32_e32 v10, vcc, v10, v14
	v_addc_co_u32_e32 v11, vcc, 0, v11, vcc
	v_mul_lo_u32 v14, s23, v10
	v_mul_lo_u32 v15, s22, v11
	v_mad_u64_u32 v[10:11], s[0:1], s22, v10, 0
	v_add3_u32 v11, v11, v15, v14
	v_sub_u32_e32 v14, v18, v11
	v_mov_b32_e32 v15, s23
	v_sub_co_u32_e32 v10, vcc, v17, v10
	v_subb_co_u32_e64 v14, s[0:1], v14, v15, vcc
	v_subrev_co_u32_e64 v17, s[0:1], s22, v10
	v_subbrev_co_u32_e64 v19, s[2:3], 0, v14, s[0:1]
	v_cmp_le_u32_e64 s[2:3], s23, v19
	v_cndmask_b32_e64 v20, 0, -1, s[2:3]
	v_cmp_le_u32_e64 s[2:3], s22, v17
	v_subb_co_u32_e64 v14, s[0:1], v14, v15, s[0:1]
	v_cndmask_b32_e64 v21, 0, -1, s[2:3]
	v_cmp_eq_u32_e64 s[2:3], s23, v19
	v_subrev_co_u32_e64 v15, s[0:1], s22, v17
	v_subb_co_u32_e32 v11, vcc, v18, v11, vcc
	v_cndmask_b32_e64 v20, v20, v21, s[2:3]
	v_subbrev_co_u32_e64 v14, s[0:1], 0, v14, s[0:1]
	v_cmp_le_u32_e32 vcc, s23, v11
	v_cmp_ne_u32_e64 s[0:1], 0, v20
	v_cndmask_b32_e64 v18, 0, -1, vcc
	v_cmp_le_u32_e32 vcc, s22, v10
	v_cndmask_b32_e64 v14, v19, v14, s[0:1]
	v_cndmask_b32_e64 v19, 0, -1, vcc
	v_cmp_eq_u32_e32 vcc, s23, v11
	v_cndmask_b32_e32 v18, v18, v19, vcc
	v_cmp_ne_u32_e32 vcc, 0, v18
	v_cndmask_b32_e32 v11, v11, v14, vcc
	v_cndmask_b32_e64 v14, v17, v15, s[0:1]
	v_cndmask_b32_e32 v10, v10, v14, vcc
	v_xor_b32_e32 v10, v10, v16
	v_xor_b32_e32 v11, v11, v16
	v_sub_co_u32_e32 v10, vcc, v10, v16
	v_subb_co_u32_e32 v11, vcc, v11, v16, vcc
.LBB3_26:
	s_andn2_saveexec_b64 s[0:1], s[20:21]
	s_cbranch_execz .LBB3_28
; %bb.27:
	v_cvt_f32_u32_e32 v10, s12
	s_sub_i32 s2, 0, s12
	v_rcp_iflag_f32_e32 v10, v10
	v_mul_f32_e32 v10, 0x4f7ffffe, v10
	v_cvt_u32_f32_e32 v10, v10
	v_mul_lo_u32 v11, s2, v10
	v_mul_hi_u32 v11, v10, v11
	v_add_u32_e32 v10, v10, v11
	v_mul_hi_u32 v10, v8, v10
	v_mul_lo_u32 v10, v10, s12
	v_sub_u32_e32 v10, v8, v10
	v_subrev_u32_e32 v11, s12, v10
	v_cmp_le_u32_e32 vcc, s12, v10
	v_cndmask_b32_e32 v10, v10, v11, vcc
	v_subrev_u32_e32 v11, s12, v10
	v_cmp_le_u32_e32 vcc, s12, v10
	v_cndmask_b32_e32 v10, v10, v11, vcc
	v_mov_b32_e32 v11, 0
.LBB3_28:
	s_or_b64 exec, exec, s[0:1]
	s_load_dwordx8 s[20:27], s[4:5], 0x30
	v_mul_lo_u32 v14, v9, s14
	v_mul_lo_u32 v15, v8, s15
	v_mad_u64_u32 v[8:9], s[0:1], v8, s14, 0
	s_load_dwordx4 s[0:3], s[4:5], 0x50
	s_load_dwordx2 s[12:13], s[4:5], 0x0
	s_waitcnt lgkmcnt(0)
	s_mul_i32 s6, s21, s8
	s_mul_hi_u32 s9, s20, s8
	s_add_i32 s15, s9, s6
	s_mul_i32 s14, s20, s8
	s_lshl_b64 s[14:15], s[14:15], 1
	v_add3_u32 v9, v9, v15, v14
	v_sub_co_u32_e32 v8, vcc, v4, v8
	s_add_u32 s6, s12, s14
	v_subb_co_u32_e32 v9, vcc, v5, v9, vcc
	s_addc_u32 s9, s13, s15
	s_mul_i32 s12, s23, s7
	s_mul_hi_u32 s13, s22, s7
	v_mul_lo_u32 v14, s25, v6
	v_mul_lo_u32 v7, s24, v7
	v_mad_u64_u32 v[4:5], s[14:15], s24, v6, 0
	s_add_i32 s13, s13, s12
	s_mul_i32 s12, s22, s7
	s_lshl_b64 s[12:13], s[12:13], 1
	s_add_u32 s6, s6, s12
	s_addc_u32 s9, s9, s13
	v_add3_u32 v5, v5, v7, v14
	v_mul_lo_u32 v15, s27, v10
	v_mul_lo_u32 v11, s26, v11
	v_mad_u64_u32 v[6:7], s[12:13], s26, v10, 0
	v_lshlrev_b64 v[4:5], 1, v[4:5]
	s_load_dwordx8 s[20:27], s[4:5], 0x88
	v_mov_b32_e32 v14, s9
	v_add_co_u32_e32 v10, vcc, s6, v4
	v_add3_u32 v7, v7, v11, v15
	v_addc_co_u32_e32 v14, vcc, v14, v5, vcc
	v_lshlrev_b64 v[4:5], 1, v[6:7]
	v_mul_lo_u32 v11, s1, v8
	v_mul_lo_u32 v9, s0, v9
	v_mad_u64_u32 v[6:7], s[0:1], s0, v8, 0
	s_load_dwordx2 s[0:1], s[4:5], 0xa8
	s_waitcnt lgkmcnt(0)
	s_mul_i32 s4, s21, s8
	s_mul_hi_u32 s5, s20, s8
	s_add_i32 s5, s5, s4
	s_mul_i32 s4, s20, s8
	v_add_co_u32_e32 v8, vcc, v10, v4
	v_add3_u32 v7, v7, v9, v11
	s_lshl_b64 s[4:5], s[4:5], 1
	v_addc_co_u32_e32 v10, vcc, v14, v5, vcc
	v_lshlrev_b64 v[4:5], 1, v[6:7]
	s_add_u32 s6, s2, s4
	s_addc_u32 s8, s3, s5
	s_mul_i32 s2, s23, s7
	s_mul_hi_u32 s3, s22, s7
	v_add_co_u32_e32 v6, vcc, v8, v4
	s_add_i32 s3, s3, s2
	s_mul_i32 s2, s22, s7
	v_mul_lo_u32 v4, s25, v2
	v_mul_lo_u32 v7, s24, v3
	v_mad_u64_u32 v[2:3], s[4:5], s24, v2, 0
	s_lshl_b64 s[2:3], s[2:3], 1
	s_add_u32 s4, s6, s2
	s_addc_u32 s2, s8, s3
	v_add3_u32 v3, v3, v7, v4
	v_mov_b32_e32 v4, s2
	v_mul_lo_u32 v7, s27, v0
	v_mul_lo_u32 v8, s26, v1
	v_mad_u64_u32 v[0:1], s[2:3], s26, v0, 0
	v_lshlrev_b64 v[2:3], 1, v[2:3]
	v_addc_co_u32_e32 v5, vcc, v10, v5, vcc
	v_add_co_u32_e32 v9, vcc, s4, v2
	v_addc_co_u32_e32 v4, vcc, v4, v3, vcc
	v_add3_u32 v1, v1, v8, v7
	v_mul_lo_u32 v7, s1, v12
	v_mul_lo_u32 v8, s0, v13
	v_mad_u64_u32 v[2:3], s[0:1], s0, v12, 0
	v_lshlrev_b64 v[0:1], 1, v[0:1]
	s_mov_b64 s[2:3], 0
	v_add_co_u32_e32 v9, vcc, v9, v0
	v_add3_u32 v3, v3, v8, v7
	v_addc_co_u32_e32 v4, vcc, v4, v1, vcc
	v_lshlrev_b64 v[0:1], 1, v[2:3]
	s_movk_i32 s4, 0x7fff
	v_add_co_u32_e32 v0, vcc, v9, v0
	v_addc_co_u32_e32 v1, vcc, v4, v1, vcc
	v_and_b32_e32 v4, 2, v6
	v_sub_co_u32_e32 v2, vcc, 0, v4
	v_subb_co_u32_e64 v3, s[0:1], 0, 0, vcc
	global_load_ushort v7, v[0:1], off
	v_add_co_u32_e32 v0, vcc, v6, v2
	v_addc_co_u32_e32 v1, vcc, v5, v3, vcc
	global_load_dword v3, v[0:1], off
	v_mov_b32_e32 v5, 0
	v_cmp_eq_u64_e64 s[0:1], 0, v[4:5]
	s_mov_b32 s5, 0xffff0000
	v_mov_b32_e32 v5, 0x7fc0
	s_waitcnt vmcnt(1)
	v_lshlrev_b32_e32 v4, 16, v7
.LBB3_29:                               ; =>This Inner Loop Header: Depth=1
	s_mov_b64 vcc, s[0:1]
	s_waitcnt vmcnt(0)
	v_and_b32_e32 v2, 0xffff, v3
	v_cndmask_b32_sdwa v6, v3, v2, vcc dst_sel:WORD_1 dst_unused:UNUSED_PAD src0_sel:WORD_1 src1_sel:DWORD
	v_add_f32_e32 v6, v4, v6
	v_bfe_u32 v7, v6, 16, 1
	v_cmp_o_f32_e32 vcc, v6, v6
	v_add3_u32 v6, v6, v7, s4
	v_cndmask_b32_sdwa v6, v5, v6, vcc dst_sel:DWORD dst_unused:UNUSED_PAD src0_sel:DWORD src1_sel:WORD_1
	v_lshl_or_b32 v2, v6, 16, v2
	v_and_or_b32 v6, v3, s5, v6
	v_cndmask_b32_e64 v2, v2, v6, s[0:1]
	global_atomic_cmpswap v2, v[0:1], v[2:3], off glc
	s_waitcnt vmcnt(0)
	v_cmp_eq_u32_e32 vcc, v3, v2
	s_or_b64 s[2:3], vcc, s[2:3]
	v_mov_b32_e32 v3, v2
	s_andn2_b64 exec, exec, s[2:3]
	s_cbranch_execnz .LBB3_29
; %bb.30:
	s_or_b64 exec, exec, s[2:3]
.LBB3_31:
	s_or_b64 exec, exec, s[18:19]
	s_and_b64 s[0:1], s[16:17], exec
.LBB3_32:
	s_andn2_saveexec_b64 s[2:3], s[10:11]
	s_cbranch_execnz .LBB3_36
; %bb.33:
	s_or_b64 exec, exec, s[2:3]
	s_and_b64 exec, exec, s[0:1]
.LBB3_34:
	; divergent unreachable
.LBB3_35:
	s_endpgm
.LBB3_36:
	s_or_b64 s[0:1], s[0:1], exec
	s_trap 2
	s_or_b64 exec, exec, s[2:3]
	s_and_b64 exec, exec, s[0:1]
	s_cbranch_execnz .LBB3_34
	s_branch .LBB3_35
.LBB3_37:
	s_mov_b64 s[16:17], exec
	s_trap 2
                                        ; implicit-def: $vgpr4_vgpr5
                                        ; implicit-def: $vgpr6_vgpr7
                                        ; implicit-def: $vgpr2_vgpr3
                                        ; implicit-def: $vgpr0_vgpr1
                                        ; implicit-def: $vgpr12
                                        ; implicit-def: $vgpr13
	s_andn2_saveexec_b64 s[18:19], s[0:1]
	s_cbranch_execnz .LBB3_20
	s_branch .LBB3_31
	.section	.rodata,"a",@progbits
	.p2align	6, 0x0
	.amdhsa_kernel _ZN2at6native12_GLOBAL__N_140fractional_max_pool3d_backward_out_frameIN3c108BFloat16EEEvN5torch10headeronly6detail27GenericPackedTensorAccessorINS7_14TensorAccessorINS3_8ArrayRefIlEET_Lm4ENS6_16DefaultPtrTraitsElEENS_6detail16IndexBoundsCheckILm5ElEESC_Lm5ESD_lEENS8_INS9_ISB_KSC_Lm4ESD_lEESH_SJ_Lm5ESD_lEENS8_INS9_ISB_KlLm4ESD_lEESH_SM_Lm5ESD_lEE
		.amdhsa_group_segment_fixed_size 0
		.amdhsa_private_segment_fixed_size 0
		.amdhsa_kernarg_size 520
		.amdhsa_user_sgpr_count 6
		.amdhsa_user_sgpr_private_segment_buffer 1
		.amdhsa_user_sgpr_dispatch_ptr 0
		.amdhsa_user_sgpr_queue_ptr 0
		.amdhsa_user_sgpr_kernarg_segment_ptr 1
		.amdhsa_user_sgpr_dispatch_id 0
		.amdhsa_user_sgpr_flat_scratch_init 0
		.amdhsa_user_sgpr_private_segment_size 0
		.amdhsa_uses_dynamic_stack 0
		.amdhsa_system_sgpr_private_segment_wavefront_offset 0
		.amdhsa_system_sgpr_workgroup_id_x 1
		.amdhsa_system_sgpr_workgroup_id_y 1
		.amdhsa_system_sgpr_workgroup_id_z 1
		.amdhsa_system_sgpr_workgroup_info 0
		.amdhsa_system_vgpr_workitem_id 0
		.amdhsa_next_free_vgpr 22
		.amdhsa_next_free_sgpr 29
		.amdhsa_reserve_vcc 1
		.amdhsa_reserve_flat_scratch 0
		.amdhsa_float_round_mode_32 0
		.amdhsa_float_round_mode_16_64 0
		.amdhsa_float_denorm_mode_32 3
		.amdhsa_float_denorm_mode_16_64 3
		.amdhsa_dx10_clamp 1
		.amdhsa_ieee_mode 1
		.amdhsa_fp16_overflow 0
		.amdhsa_exception_fp_ieee_invalid_op 0
		.amdhsa_exception_fp_denorm_src 0
		.amdhsa_exception_fp_ieee_div_zero 0
		.amdhsa_exception_fp_ieee_overflow 0
		.amdhsa_exception_fp_ieee_underflow 0
		.amdhsa_exception_fp_ieee_inexact 0
		.amdhsa_exception_int_div_zero 0
	.end_amdhsa_kernel
	.section	.text._ZN2at6native12_GLOBAL__N_140fractional_max_pool3d_backward_out_frameIN3c108BFloat16EEEvN5torch10headeronly6detail27GenericPackedTensorAccessorINS7_14TensorAccessorINS3_8ArrayRefIlEET_Lm4ENS6_16DefaultPtrTraitsElEENS_6detail16IndexBoundsCheckILm5ElEESC_Lm5ESD_lEENS8_INS9_ISB_KSC_Lm4ESD_lEESH_SJ_Lm5ESD_lEENS8_INS9_ISB_KlLm4ESD_lEESH_SM_Lm5ESD_lEE,"axG",@progbits,_ZN2at6native12_GLOBAL__N_140fractional_max_pool3d_backward_out_frameIN3c108BFloat16EEEvN5torch10headeronly6detail27GenericPackedTensorAccessorINS7_14TensorAccessorINS3_8ArrayRefIlEET_Lm4ENS6_16DefaultPtrTraitsElEENS_6detail16IndexBoundsCheckILm5ElEESC_Lm5ESD_lEENS8_INS9_ISB_KSC_Lm4ESD_lEESH_SJ_Lm5ESD_lEENS8_INS9_ISB_KlLm4ESD_lEESH_SM_Lm5ESD_lEE,comdat
.Lfunc_end3:
	.size	_ZN2at6native12_GLOBAL__N_140fractional_max_pool3d_backward_out_frameIN3c108BFloat16EEEvN5torch10headeronly6detail27GenericPackedTensorAccessorINS7_14TensorAccessorINS3_8ArrayRefIlEET_Lm4ENS6_16DefaultPtrTraitsElEENS_6detail16IndexBoundsCheckILm5ElEESC_Lm5ESD_lEENS8_INS9_ISB_KSC_Lm4ESD_lEESH_SJ_Lm5ESD_lEENS8_INS9_ISB_KlLm4ESD_lEESH_SM_Lm5ESD_lEE, .Lfunc_end3-_ZN2at6native12_GLOBAL__N_140fractional_max_pool3d_backward_out_frameIN3c108BFloat16EEEvN5torch10headeronly6detail27GenericPackedTensorAccessorINS7_14TensorAccessorINS3_8ArrayRefIlEET_Lm4ENS6_16DefaultPtrTraitsElEENS_6detail16IndexBoundsCheckILm5ElEESC_Lm5ESD_lEENS8_INS9_ISB_KSC_Lm4ESD_lEESH_SJ_Lm5ESD_lEENS8_INS9_ISB_KlLm4ESD_lEESH_SM_Lm5ESD_lEE
                                        ; -- End function
	.set _ZN2at6native12_GLOBAL__N_140fractional_max_pool3d_backward_out_frameIN3c108BFloat16EEEvN5torch10headeronly6detail27GenericPackedTensorAccessorINS7_14TensorAccessorINS3_8ArrayRefIlEET_Lm4ENS6_16DefaultPtrTraitsElEENS_6detail16IndexBoundsCheckILm5ElEESC_Lm5ESD_lEENS8_INS9_ISB_KSC_Lm4ESD_lEESH_SJ_Lm5ESD_lEENS8_INS9_ISB_KlLm4ESD_lEESH_SM_Lm5ESD_lEE.num_vgpr, 22
	.set _ZN2at6native12_GLOBAL__N_140fractional_max_pool3d_backward_out_frameIN3c108BFloat16EEEvN5torch10headeronly6detail27GenericPackedTensorAccessorINS7_14TensorAccessorINS3_8ArrayRefIlEET_Lm4ENS6_16DefaultPtrTraitsElEENS_6detail16IndexBoundsCheckILm5ElEESC_Lm5ESD_lEENS8_INS9_ISB_KSC_Lm4ESD_lEESH_SJ_Lm5ESD_lEENS8_INS9_ISB_KlLm4ESD_lEESH_SM_Lm5ESD_lEE.num_agpr, 0
	.set _ZN2at6native12_GLOBAL__N_140fractional_max_pool3d_backward_out_frameIN3c108BFloat16EEEvN5torch10headeronly6detail27GenericPackedTensorAccessorINS7_14TensorAccessorINS3_8ArrayRefIlEET_Lm4ENS6_16DefaultPtrTraitsElEENS_6detail16IndexBoundsCheckILm5ElEESC_Lm5ESD_lEENS8_INS9_ISB_KSC_Lm4ESD_lEESH_SJ_Lm5ESD_lEENS8_INS9_ISB_KlLm4ESD_lEESH_SM_Lm5ESD_lEE.numbered_sgpr, 29
	.set _ZN2at6native12_GLOBAL__N_140fractional_max_pool3d_backward_out_frameIN3c108BFloat16EEEvN5torch10headeronly6detail27GenericPackedTensorAccessorINS7_14TensorAccessorINS3_8ArrayRefIlEET_Lm4ENS6_16DefaultPtrTraitsElEENS_6detail16IndexBoundsCheckILm5ElEESC_Lm5ESD_lEENS8_INS9_ISB_KSC_Lm4ESD_lEESH_SJ_Lm5ESD_lEENS8_INS9_ISB_KlLm4ESD_lEESH_SM_Lm5ESD_lEE.num_named_barrier, 0
	.set _ZN2at6native12_GLOBAL__N_140fractional_max_pool3d_backward_out_frameIN3c108BFloat16EEEvN5torch10headeronly6detail27GenericPackedTensorAccessorINS7_14TensorAccessorINS3_8ArrayRefIlEET_Lm4ENS6_16DefaultPtrTraitsElEENS_6detail16IndexBoundsCheckILm5ElEESC_Lm5ESD_lEENS8_INS9_ISB_KSC_Lm4ESD_lEESH_SJ_Lm5ESD_lEENS8_INS9_ISB_KlLm4ESD_lEESH_SM_Lm5ESD_lEE.private_seg_size, 0
	.set _ZN2at6native12_GLOBAL__N_140fractional_max_pool3d_backward_out_frameIN3c108BFloat16EEEvN5torch10headeronly6detail27GenericPackedTensorAccessorINS7_14TensorAccessorINS3_8ArrayRefIlEET_Lm4ENS6_16DefaultPtrTraitsElEENS_6detail16IndexBoundsCheckILm5ElEESC_Lm5ESD_lEENS8_INS9_ISB_KSC_Lm4ESD_lEESH_SJ_Lm5ESD_lEENS8_INS9_ISB_KlLm4ESD_lEESH_SM_Lm5ESD_lEE.uses_vcc, 1
	.set _ZN2at6native12_GLOBAL__N_140fractional_max_pool3d_backward_out_frameIN3c108BFloat16EEEvN5torch10headeronly6detail27GenericPackedTensorAccessorINS7_14TensorAccessorINS3_8ArrayRefIlEET_Lm4ENS6_16DefaultPtrTraitsElEENS_6detail16IndexBoundsCheckILm5ElEESC_Lm5ESD_lEENS8_INS9_ISB_KSC_Lm4ESD_lEESH_SJ_Lm5ESD_lEENS8_INS9_ISB_KlLm4ESD_lEESH_SM_Lm5ESD_lEE.uses_flat_scratch, 0
	.set _ZN2at6native12_GLOBAL__N_140fractional_max_pool3d_backward_out_frameIN3c108BFloat16EEEvN5torch10headeronly6detail27GenericPackedTensorAccessorINS7_14TensorAccessorINS3_8ArrayRefIlEET_Lm4ENS6_16DefaultPtrTraitsElEENS_6detail16IndexBoundsCheckILm5ElEESC_Lm5ESD_lEENS8_INS9_ISB_KSC_Lm4ESD_lEESH_SJ_Lm5ESD_lEENS8_INS9_ISB_KlLm4ESD_lEESH_SM_Lm5ESD_lEE.has_dyn_sized_stack, 0
	.set _ZN2at6native12_GLOBAL__N_140fractional_max_pool3d_backward_out_frameIN3c108BFloat16EEEvN5torch10headeronly6detail27GenericPackedTensorAccessorINS7_14TensorAccessorINS3_8ArrayRefIlEET_Lm4ENS6_16DefaultPtrTraitsElEENS_6detail16IndexBoundsCheckILm5ElEESC_Lm5ESD_lEENS8_INS9_ISB_KSC_Lm4ESD_lEESH_SJ_Lm5ESD_lEENS8_INS9_ISB_KlLm4ESD_lEESH_SM_Lm5ESD_lEE.has_recursion, 0
	.set _ZN2at6native12_GLOBAL__N_140fractional_max_pool3d_backward_out_frameIN3c108BFloat16EEEvN5torch10headeronly6detail27GenericPackedTensorAccessorINS7_14TensorAccessorINS3_8ArrayRefIlEET_Lm4ENS6_16DefaultPtrTraitsElEENS_6detail16IndexBoundsCheckILm5ElEESC_Lm5ESD_lEENS8_INS9_ISB_KSC_Lm4ESD_lEESH_SJ_Lm5ESD_lEENS8_INS9_ISB_KlLm4ESD_lEESH_SM_Lm5ESD_lEE.has_indirect_call, 0
	.section	.AMDGPU.csdata,"",@progbits
; Kernel info:
; codeLenInByte = 5708
; TotalNumSgprs: 33
; NumVgprs: 22
; ScratchSize: 0
; MemoryBound: 0
; FloatMode: 240
; IeeeMode: 1
; LDSByteSize: 0 bytes/workgroup (compile time only)
; SGPRBlocks: 4
; VGPRBlocks: 5
; NumSGPRsForWavesPerEU: 33
; NumVGPRsForWavesPerEU: 22
; Occupancy: 10
; WaveLimiterHint : 1
; COMPUTE_PGM_RSRC2:SCRATCH_EN: 0
; COMPUTE_PGM_RSRC2:USER_SGPR: 6
; COMPUTE_PGM_RSRC2:TRAP_HANDLER: 0
; COMPUTE_PGM_RSRC2:TGID_X_EN: 1
; COMPUTE_PGM_RSRC2:TGID_Y_EN: 1
; COMPUTE_PGM_RSRC2:TGID_Z_EN: 1
; COMPUTE_PGM_RSRC2:TIDIG_COMP_CNT: 0
	.section	.text._ZN2at6native12_GLOBAL__N_131fractional_max_pool3d_out_frameIdEEvN5torch10headeronly6detail27GenericPackedTensorAccessorINS5_14TensorAccessorIN3c108ArrayRefIlEEKT_Lm4ENS4_16DefaultPtrTraitsElEENS_6detail16IndexBoundsCheckILm5ElEESC_Lm5ESD_lEENS6_INS7_ISA_SB_Lm4ESD_lEESH_SB_Lm5ESD_lEENS6_INS7_ISA_lLm4ESD_lEESH_lLm5ESD_lEENS6_INS7_ISA_SC_Lm2ESD_lEENSG_ILm3ElEESC_Lm3ESD_lEElll,"axG",@progbits,_ZN2at6native12_GLOBAL__N_131fractional_max_pool3d_out_frameIdEEvN5torch10headeronly6detail27GenericPackedTensorAccessorINS5_14TensorAccessorIN3c108ArrayRefIlEEKT_Lm4ENS4_16DefaultPtrTraitsElEENS_6detail16IndexBoundsCheckILm5ElEESC_Lm5ESD_lEENS6_INS7_ISA_SB_Lm4ESD_lEESH_SB_Lm5ESD_lEENS6_INS7_ISA_lLm4ESD_lEESH_lLm5ESD_lEENS6_INS7_ISA_SC_Lm2ESD_lEENSG_ILm3ElEESC_Lm3ESD_lEElll,comdat
	.globl	_ZN2at6native12_GLOBAL__N_131fractional_max_pool3d_out_frameIdEEvN5torch10headeronly6detail27GenericPackedTensorAccessorINS5_14TensorAccessorIN3c108ArrayRefIlEEKT_Lm4ENS4_16DefaultPtrTraitsElEENS_6detail16IndexBoundsCheckILm5ElEESC_Lm5ESD_lEENS6_INS7_ISA_SB_Lm4ESD_lEESH_SB_Lm5ESD_lEENS6_INS7_ISA_lLm4ESD_lEESH_lLm5ESD_lEENS6_INS7_ISA_SC_Lm2ESD_lEENSG_ILm3ElEESC_Lm3ESD_lEElll ; -- Begin function _ZN2at6native12_GLOBAL__N_131fractional_max_pool3d_out_frameIdEEvN5torch10headeronly6detail27GenericPackedTensorAccessorINS5_14TensorAccessorIN3c108ArrayRefIlEEKT_Lm4ENS4_16DefaultPtrTraitsElEENS_6detail16IndexBoundsCheckILm5ElEESC_Lm5ESD_lEENS6_INS7_ISA_SB_Lm4ESD_lEESH_SB_Lm5ESD_lEENS6_INS7_ISA_lLm4ESD_lEESH_lLm5ESD_lEENS6_INS7_ISA_SC_Lm2ESD_lEENSG_ILm3ElEESC_Lm3ESD_lEElll
	.p2align	8
	.type	_ZN2at6native12_GLOBAL__N_131fractional_max_pool3d_out_frameIdEEvN5torch10headeronly6detail27GenericPackedTensorAccessorINS5_14TensorAccessorIN3c108ArrayRefIlEEKT_Lm4ENS4_16DefaultPtrTraitsElEENS_6detail16IndexBoundsCheckILm5ElEESC_Lm5ESD_lEENS6_INS7_ISA_SB_Lm4ESD_lEESH_SB_Lm5ESD_lEENS6_INS7_ISA_lLm4ESD_lEESH_lLm5ESD_lEENS6_INS7_ISA_SC_Lm2ESD_lEENSG_ILm3ElEESC_Lm3ESD_lEElll,@function
_ZN2at6native12_GLOBAL__N_131fractional_max_pool3d_out_frameIdEEvN5torch10headeronly6detail27GenericPackedTensorAccessorINS5_14TensorAccessorIN3c108ArrayRefIlEEKT_Lm4ENS4_16DefaultPtrTraitsElEENS_6detail16IndexBoundsCheckILm5ElEESC_Lm5ESD_lEENS6_INS7_ISA_SB_Lm4ESD_lEESH_SB_Lm5ESD_lEENS6_INS7_ISA_lLm4ESD_lEESH_lLm5ESD_lEENS6_INS7_ISA_SC_Lm2ESD_lEENSG_ILm3ElEESC_Lm3ESD_lEElll: ; @_ZN2at6native12_GLOBAL__N_131fractional_max_pool3d_out_frameIdEEvN5torch10headeronly6detail27GenericPackedTensorAccessorINS5_14TensorAccessorIN3c108ArrayRefIlEEKT_Lm4ENS4_16DefaultPtrTraitsElEENS_6detail16IndexBoundsCheckILm5ElEESC_Lm5ESD_lEENS6_INS7_ISA_SB_Lm4ESD_lEESH_SB_Lm5ESD_lEENS6_INS7_ISA_lLm4ESD_lEESH_lLm5ESD_lEENS6_INS7_ISA_SC_Lm2ESD_lEENSG_ILm3ElEESC_Lm3ESD_lEElll
; %bb.0:
	s_load_dword s0, s[4:5], 0x164
	s_load_dwordx4 s[12:15], s[4:5], 0x70
	s_load_dwordx2 s[10:11], s[4:5], 0x80
	v_mov_b32_e32 v2, 0
	v_mov_b32_e32 v1, v2
	;; [unrolled: 1-line block ×3, first 2 shown]
	s_waitcnt lgkmcnt(0)
	s_and_b32 s0, s0, 0xffff
	v_mad_u64_u32 v[4:5], s[0:1], s0, v3, v[0:1]
	s_mul_i32 s0, s10, s15
	s_mul_hi_u32 s1, s10, s14
	s_add_i32 s0, s1, s0
	s_mul_i32 s1, s11, s14
	s_mul_i32 s6, s10, s14
	s_add_i32 s0, s0, s1
	s_mul_i32 s1, s6, s13
	s_mul_hi_u32 s2, s6, s12
	s_add_i32 s1, s2, s1
	s_mul_i32 s2, s0, s12
	s_add_i32 s3, s1, s2
	s_mul_i32 s2, s6, s12
	v_cmp_gt_i64_e32 vcc, s[2:3], v[4:5]
	s_and_saveexec_b64 s[2:3], vcc
	s_cbranch_execz .LBB4_39
; %bb.1:
	v_or_b32_e32 v3, s0, v5
	v_cmp_ne_u64_e32 vcc, 0, v[2:3]
	v_ashrrev_i32_e32 v2, 31, v5
                                        ; implicit-def: $vgpr0_vgpr1
	s_and_saveexec_b64 s[2:3], vcc
	s_xor_b64 s[2:3], exec, s[2:3]
	s_cbranch_execz .LBB4_3
; %bb.2:
	s_ashr_i32 s16, s0, 31
	s_add_u32 s18, s6, s16
	s_mov_b32 s17, s16
	s_addc_u32 s19, s0, s16
	s_xor_b64 s[18:19], s[18:19], s[16:17]
	v_cvt_f32_u32_e32 v0, s18
	v_cvt_f32_u32_e32 v1, s19
	s_sub_u32 s9, 0, s18
	s_subb_u32 s17, 0, s19
	v_madmk_f32 v0, v1, 0x4f800000, v0
	v_rcp_f32_e32 v0, v0
	v_mul_f32_e32 v0, 0x5f7ffffc, v0
	v_mul_f32_e32 v1, 0x2f800000, v0
	v_trunc_f32_e32 v1, v1
	v_madmk_f32 v0, v1, 0xcf800000, v0
	v_cvt_u32_f32_e32 v1, v1
	v_cvt_u32_f32_e32 v0, v0
	v_readfirstlane_b32 s20, v1
	v_readfirstlane_b32 s0, v0
	s_mul_i32 s1, s9, s20
	s_mul_hi_u32 s22, s9, s0
	s_mul_i32 s21, s17, s0
	s_add_i32 s1, s22, s1
	s_add_i32 s1, s1, s21
	s_mul_i32 s23, s9, s0
	s_mul_i32 s22, s0, s1
	s_mul_hi_u32 s24, s0, s23
	s_mul_hi_u32 s21, s0, s1
	s_add_u32 s22, s24, s22
	s_addc_u32 s21, 0, s21
	s_mul_hi_u32 s25, s20, s23
	s_mul_i32 s23, s20, s23
	s_add_u32 s22, s22, s23
	s_mul_hi_u32 s24, s20, s1
	s_addc_u32 s21, s21, s25
	s_addc_u32 s22, s24, 0
	s_mul_i32 s1, s20, s1
	s_add_u32 s1, s21, s1
	s_addc_u32 s21, 0, s22
	s_add_u32 s22, s0, s1
	s_cselect_b64 s[0:1], -1, 0
	s_cmp_lg_u64 s[0:1], 0
	s_addc_u32 s20, s20, s21
	s_mul_i32 s0, s9, s20
	s_mul_hi_u32 s1, s9, s22
	s_add_i32 s0, s1, s0
	s_mul_i32 s17, s17, s22
	s_add_i32 s0, s0, s17
	s_mul_i32 s9, s9, s22
	s_mul_hi_u32 s17, s20, s9
	s_mul_i32 s21, s20, s9
	s_mul_i32 s24, s22, s0
	s_mul_hi_u32 s9, s22, s9
	s_mul_hi_u32 s23, s22, s0
	s_add_u32 s9, s9, s24
	s_addc_u32 s23, 0, s23
	s_add_u32 s9, s9, s21
	s_mul_hi_u32 s1, s20, s0
	s_addc_u32 s9, s23, s17
	s_addc_u32 s1, s1, 0
	s_mul_i32 s0, s20, s0
	s_add_u32 s0, s9, s0
	s_addc_u32 s9, 0, s1
	s_add_u32 s17, s22, s0
	s_cselect_b64 s[0:1], -1, 0
	s_cmp_lg_u64 s[0:1], 0
	v_add_co_u32_e32 v0, vcc, v4, v2
	s_addc_u32 s9, s20, s9
	v_xor_b32_e32 v8, v0, v2
	v_mad_u64_u32 v[0:1], s[0:1], v8, s9, 0
	v_mul_hi_u32 v6, v8, s17
	v_addc_co_u32_e32 v3, vcc, v5, v2, vcc
	v_xor_b32_e32 v3, v3, v2
	v_add_co_u32_e32 v9, vcc, v6, v0
	v_addc_co_u32_e32 v10, vcc, 0, v1, vcc
	v_mad_u64_u32 v[0:1], s[0:1], v3, s17, 0
	v_mad_u64_u32 v[6:7], s[0:1], v3, s9, 0
	v_add_co_u32_e32 v0, vcc, v9, v0
	v_addc_co_u32_e32 v0, vcc, v10, v1, vcc
	v_addc_co_u32_e32 v1, vcc, 0, v7, vcc
	v_add_co_u32_e32 v6, vcc, v0, v6
	v_addc_co_u32_e32 v7, vcc, 0, v1, vcc
	v_mul_lo_u32 v9, s19, v6
	v_mul_lo_u32 v10, s18, v7
	v_mad_u64_u32 v[0:1], s[0:1], s18, v6, 0
	v_add3_u32 v1, v1, v10, v9
	v_sub_u32_e32 v9, v3, v1
	v_mov_b32_e32 v10, s19
	v_sub_co_u32_e32 v0, vcc, v8, v0
	v_subb_co_u32_e64 v8, s[0:1], v9, v10, vcc
	v_subrev_co_u32_e64 v9, s[0:1], s18, v0
	v_subbrev_co_u32_e64 v8, s[0:1], 0, v8, s[0:1]
	v_cmp_le_u32_e64 s[0:1], s19, v8
	v_cndmask_b32_e64 v10, 0, -1, s[0:1]
	v_cmp_le_u32_e64 s[0:1], s18, v9
	v_cndmask_b32_e64 v9, 0, -1, s[0:1]
	v_cmp_eq_u32_e64 s[0:1], s19, v8
	v_cndmask_b32_e64 v8, v10, v9, s[0:1]
	v_add_co_u32_e64 v9, s[0:1], 2, v6
	v_subb_co_u32_e32 v1, vcc, v3, v1, vcc
	v_addc_co_u32_e64 v10, s[0:1], 0, v7, s[0:1]
	v_cmp_le_u32_e32 vcc, s19, v1
	v_add_co_u32_e64 v11, s[0:1], 1, v6
	v_cndmask_b32_e64 v3, 0, -1, vcc
	v_cmp_le_u32_e32 vcc, s18, v0
	v_addc_co_u32_e64 v12, s[0:1], 0, v7, s[0:1]
	v_cndmask_b32_e64 v0, 0, -1, vcc
	v_cmp_eq_u32_e32 vcc, s19, v1
	v_cmp_ne_u32_e64 s[0:1], 0, v8
	v_cndmask_b32_e32 v0, v3, v0, vcc
	v_cndmask_b32_e64 v8, v12, v10, s[0:1]
	v_cmp_ne_u32_e32 vcc, 0, v0
	v_cndmask_b32_e64 v1, v11, v9, s[0:1]
	v_cndmask_b32_e32 v0, v7, v8, vcc
	v_cndmask_b32_e32 v1, v6, v1, vcc
	v_xor_b32_e32 v3, s16, v2
	v_xor_b32_e32 v6, v0, v3
	;; [unrolled: 1-line block ×3, first 2 shown]
	v_sub_co_u32_e32 v0, vcc, v0, v3
	v_subb_co_u32_e32 v1, vcc, v6, v3, vcc
.LBB4_3:
	s_andn2_saveexec_b64 s[0:1], s[2:3]
	s_cbranch_execz .LBB4_5
; %bb.4:
	v_cvt_f32_u32_e32 v0, s6
	s_sub_i32 s2, 0, s6
	v_rcp_iflag_f32_e32 v0, v0
	v_mul_f32_e32 v0, 0x4f7ffffe, v0
	v_cvt_u32_f32_e32 v0, v0
	v_mul_lo_u32 v1, s2, v0
	v_mul_hi_u32 v1, v0, v1
	v_add_u32_e32 v0, v0, v1
	v_mul_hi_u32 v0, v4, v0
	v_mul_lo_u32 v1, v0, s6
	v_add_u32_e32 v3, 1, v0
	v_sub_u32_e32 v1, v4, v1
	v_subrev_u32_e32 v6, s6, v1
	v_cmp_le_u32_e32 vcc, s6, v1
	v_cndmask_b32_e32 v1, v1, v6, vcc
	v_cndmask_b32_e32 v0, v0, v3, vcc
	v_add_u32_e32 v3, 1, v0
	v_cmp_le_u32_e32 vcc, s6, v1
	v_cndmask_b32_e32 v0, v0, v3, vcc
	v_mov_b32_e32 v1, 0
.LBB4_5:
	s_or_b64 exec, exec, s[0:1]
	v_or_b32_e32 v7, s11, v5
	v_mov_b32_e32 v6, 0
	v_cmp_ne_u64_e32 vcc, 0, v[6:7]
                                        ; implicit-def: $vgpr10_vgpr11
	s_and_saveexec_b64 s[0:1], vcc
	s_xor_b64 s[2:3], exec, s[0:1]
	s_cbranch_execz .LBB4_7
; %bb.6:
	s_ashr_i32 s16, s11, 31
	s_add_u32 s0, s10, s16
	s_mov_b32 s17, s16
	s_addc_u32 s1, s11, s16
	s_xor_b64 s[18:19], s[0:1], s[16:17]
	v_cvt_f32_u32_e32 v3, s18
	v_cvt_f32_u32_e32 v6, s19
	s_sub_u32 s6, 0, s18
	s_subb_u32 s9, 0, s19
	v_madmk_f32 v3, v6, 0x4f800000, v3
	v_rcp_f32_e32 v3, v3
	v_mul_f32_e32 v3, 0x5f7ffffc, v3
	v_mul_f32_e32 v6, 0x2f800000, v3
	v_trunc_f32_e32 v6, v6
	v_madmk_f32 v3, v6, 0xcf800000, v3
	v_cvt_u32_f32_e32 v6, v6
	v_cvt_u32_f32_e32 v3, v3
	v_readfirstlane_b32 s17, v6
	v_readfirstlane_b32 s0, v3
	s_mul_i32 s1, s6, s17
	s_mul_hi_u32 s21, s6, s0
	s_mul_i32 s20, s9, s0
	s_add_i32 s1, s21, s1
	s_add_i32 s1, s1, s20
	s_mul_i32 s22, s6, s0
	s_mul_i32 s21, s0, s1
	s_mul_hi_u32 s23, s0, s22
	s_mul_hi_u32 s20, s0, s1
	s_add_u32 s21, s23, s21
	s_addc_u32 s20, 0, s20
	s_mul_hi_u32 s24, s17, s22
	s_mul_i32 s22, s17, s22
	s_add_u32 s21, s21, s22
	s_mul_hi_u32 s23, s17, s1
	s_addc_u32 s20, s20, s24
	s_addc_u32 s21, s23, 0
	s_mul_i32 s1, s17, s1
	s_add_u32 s1, s20, s1
	s_addc_u32 s20, 0, s21
	s_add_u32 s21, s0, s1
	s_cselect_b64 s[0:1], -1, 0
	s_cmp_lg_u64 s[0:1], 0
	s_addc_u32 s17, s17, s20
	s_mul_i32 s0, s6, s17
	s_mul_hi_u32 s1, s6, s21
	s_add_i32 s0, s1, s0
	s_mul_i32 s9, s9, s21
	s_add_i32 s0, s0, s9
	s_mul_i32 s6, s6, s21
	s_mul_hi_u32 s9, s17, s6
	s_mul_i32 s20, s17, s6
	s_mul_i32 s23, s21, s0
	s_mul_hi_u32 s6, s21, s6
	s_mul_hi_u32 s22, s21, s0
	s_add_u32 s6, s6, s23
	s_addc_u32 s22, 0, s22
	s_add_u32 s6, s6, s20
	s_mul_hi_u32 s1, s17, s0
	s_addc_u32 s6, s22, s9
	s_addc_u32 s1, s1, 0
	s_mul_i32 s0, s17, s0
	s_add_u32 s0, s6, s0
	s_addc_u32 s6, 0, s1
	s_add_u32 s9, s21, s0
	s_cselect_b64 s[0:1], -1, 0
	s_cmp_lg_u64 s[0:1], 0
	v_add_co_u32_e32 v3, vcc, v4, v2
	s_addc_u32 s6, s17, s6
	v_xor_b32_e32 v3, v3, v2
	v_mad_u64_u32 v[6:7], s[0:1], v3, s6, 0
	v_mul_hi_u32 v9, v3, s9
	v_addc_co_u32_e32 v8, vcc, v5, v2, vcc
	v_xor_b32_e32 v10, v8, v2
	v_add_co_u32_e32 v11, vcc, v9, v6
	v_addc_co_u32_e32 v12, vcc, 0, v7, vcc
	v_mad_u64_u32 v[6:7], s[0:1], v10, s9, 0
	v_mad_u64_u32 v[8:9], s[0:1], v10, s6, 0
	v_add_co_u32_e32 v6, vcc, v11, v6
	v_addc_co_u32_e32 v6, vcc, v12, v7, vcc
	v_addc_co_u32_e32 v7, vcc, 0, v9, vcc
	v_add_co_u32_e32 v8, vcc, v6, v8
	v_addc_co_u32_e32 v9, vcc, 0, v7, vcc
	v_mul_lo_u32 v11, s19, v8
	v_mul_lo_u32 v12, s18, v9
	v_mad_u64_u32 v[6:7], s[0:1], s18, v8, 0
	v_xor_b32_e32 v2, s16, v2
	v_add3_u32 v7, v7, v12, v11
	v_sub_u32_e32 v11, v10, v7
	v_mov_b32_e32 v12, s19
	v_sub_co_u32_e32 v3, vcc, v3, v6
	v_subb_co_u32_e64 v6, s[0:1], v11, v12, vcc
	v_subrev_co_u32_e64 v11, s[0:1], s18, v3
	v_subbrev_co_u32_e64 v6, s[0:1], 0, v6, s[0:1]
	v_cmp_le_u32_e64 s[0:1], s19, v6
	v_cndmask_b32_e64 v12, 0, -1, s[0:1]
	v_cmp_le_u32_e64 s[0:1], s18, v11
	v_cndmask_b32_e64 v11, 0, -1, s[0:1]
	v_cmp_eq_u32_e64 s[0:1], s19, v6
	v_cndmask_b32_e64 v6, v12, v11, s[0:1]
	v_add_co_u32_e64 v11, s[0:1], 2, v8
	v_subb_co_u32_e32 v7, vcc, v10, v7, vcc
	v_addc_co_u32_e64 v12, s[0:1], 0, v9, s[0:1]
	v_cmp_le_u32_e32 vcc, s19, v7
	v_add_co_u32_e64 v13, s[0:1], 1, v8
	v_cndmask_b32_e64 v10, 0, -1, vcc
	v_cmp_le_u32_e32 vcc, s18, v3
	v_addc_co_u32_e64 v14, s[0:1], 0, v9, s[0:1]
	v_cndmask_b32_e64 v3, 0, -1, vcc
	v_cmp_eq_u32_e32 vcc, s19, v7
	v_cmp_ne_u32_e64 s[0:1], 0, v6
	v_cndmask_b32_e32 v3, v10, v3, vcc
	v_cndmask_b32_e64 v6, v14, v12, s[0:1]
	v_cmp_ne_u32_e32 vcc, 0, v3
	v_cndmask_b32_e32 v3, v9, v6, vcc
	v_cndmask_b32_e64 v6, v13, v11, s[0:1]
	v_cndmask_b32_e32 v6, v8, v6, vcc
	v_xor_b32_e32 v6, v6, v2
	v_xor_b32_e32 v3, v3, v2
	v_sub_co_u32_e32 v10, vcc, v6, v2
	v_subb_co_u32_e32 v11, vcc, v3, v2, vcc
.LBB4_7:
	s_andn2_saveexec_b64 s[0:1], s[2:3]
	s_cbranch_execz .LBB4_9
; %bb.8:
	v_cvt_f32_u32_e32 v2, s10
	s_sub_i32 s2, 0, s10
	v_mov_b32_e32 v11, 0
	v_rcp_iflag_f32_e32 v2, v2
	v_mul_f32_e32 v2, 0x4f7ffffe, v2
	v_cvt_u32_f32_e32 v2, v2
	v_mul_lo_u32 v3, s2, v2
	v_mul_hi_u32 v3, v2, v3
	v_add_u32_e32 v2, v2, v3
	v_mul_hi_u32 v2, v4, v2
	v_mul_lo_u32 v3, v2, s10
	v_add_u32_e32 v6, 1, v2
	v_sub_u32_e32 v3, v4, v3
	v_subrev_u32_e32 v7, s10, v3
	v_cmp_le_u32_e32 vcc, s10, v3
	v_cndmask_b32_e32 v3, v3, v7, vcc
	v_cndmask_b32_e32 v2, v2, v6, vcc
	v_add_u32_e32 v6, 1, v2
	v_cmp_le_u32_e32 vcc, s10, v3
	v_cndmask_b32_e32 v10, v2, v6, vcc
.LBB4_9:
	s_or_b64 exec, exec, s[0:1]
	v_or_b32_e32 v3, s15, v11
	v_mov_b32_e32 v2, 0
	v_cmp_ne_u64_e32 vcc, 0, v[2:3]
                                        ; implicit-def: $vgpr2_vgpr3
	s_and_saveexec_b64 s[0:1], vcc
	s_xor_b64 s[16:17], exec, s[0:1]
	s_cbranch_execz .LBB4_11
; %bb.10:
	s_ashr_i32 s0, s15, 31
	s_add_u32 s2, s14, s0
	s_mov_b32 s1, s0
	s_addc_u32 s3, s15, s0
	s_xor_b64 s[18:19], s[2:3], s[0:1]
	v_cvt_f32_u32_e32 v2, s18
	v_cvt_f32_u32_e32 v3, s19
	s_sub_u32 s2, 0, s18
	s_subb_u32 s3, 0, s19
	v_ashrrev_i32_e32 v8, 31, v11
	v_madmk_f32 v2, v3, 0x4f800000, v2
	v_rcp_f32_e32 v2, v2
	v_mul_f32_e32 v2, 0x5f7ffffc, v2
	v_mul_f32_e32 v3, 0x2f800000, v2
	v_trunc_f32_e32 v3, v3
	v_madmk_f32 v2, v3, 0xcf800000, v2
	v_cvt_u32_f32_e32 v3, v3
	v_cvt_u32_f32_e32 v2, v2
	v_readfirstlane_b32 s6, v3
	v_readfirstlane_b32 s0, v2
	s_mul_i32 s1, s2, s6
	s_mul_hi_u32 s20, s2, s0
	s_mul_i32 s9, s3, s0
	s_add_i32 s1, s20, s1
	s_add_i32 s1, s1, s9
	s_mul_i32 s21, s2, s0
	s_mul_i32 s20, s0, s1
	s_mul_hi_u32 s22, s0, s21
	s_mul_hi_u32 s9, s0, s1
	s_add_u32 s20, s22, s20
	s_addc_u32 s9, 0, s9
	s_mul_hi_u32 s23, s6, s21
	s_mul_i32 s21, s6, s21
	s_add_u32 s20, s20, s21
	s_mul_hi_u32 s22, s6, s1
	s_addc_u32 s9, s9, s23
	s_addc_u32 s20, s22, 0
	s_mul_i32 s1, s6, s1
	s_add_u32 s1, s9, s1
	s_addc_u32 s9, 0, s20
	s_add_u32 s20, s0, s1
	s_cselect_b64 s[0:1], -1, 0
	s_cmp_lg_u64 s[0:1], 0
	s_addc_u32 s6, s6, s9
	s_mul_i32 s0, s2, s6
	s_mul_hi_u32 s1, s2, s20
	s_add_i32 s0, s1, s0
	s_mul_i32 s3, s3, s20
	s_add_i32 s0, s0, s3
	s_mul_i32 s2, s2, s20
	s_mul_hi_u32 s3, s6, s2
	s_mul_i32 s9, s6, s2
	s_mul_i32 s22, s20, s0
	s_mul_hi_u32 s2, s20, s2
	s_mul_hi_u32 s21, s20, s0
	s_add_u32 s2, s2, s22
	s_addc_u32 s21, 0, s21
	s_add_u32 s2, s2, s9
	s_mul_hi_u32 s1, s6, s0
	s_addc_u32 s2, s21, s3
	s_addc_u32 s1, s1, 0
	s_mul_i32 s0, s6, s0
	s_add_u32 s0, s2, s0
	s_addc_u32 s2, 0, s1
	s_add_u32 s3, s20, s0
	s_cselect_b64 s[0:1], -1, 0
	s_cmp_lg_u64 s[0:1], 0
	v_add_co_u32_e32 v2, vcc, v10, v8
	s_addc_u32 s2, s6, s2
	v_xor_b32_e32 v9, v2, v8
	v_mad_u64_u32 v[2:3], s[0:1], v9, s2, 0
	v_mul_hi_u32 v7, v9, s3
	v_addc_co_u32_e32 v6, vcc, v11, v8, vcc
	v_xor_b32_e32 v12, v6, v8
	v_add_co_u32_e32 v13, vcc, v7, v2
	v_addc_co_u32_e32 v14, vcc, 0, v3, vcc
	v_mad_u64_u32 v[2:3], s[0:1], v12, s3, 0
	v_mad_u64_u32 v[6:7], s[0:1], v12, s2, 0
	v_add_co_u32_e32 v2, vcc, v13, v2
	v_addc_co_u32_e32 v2, vcc, v14, v3, vcc
	v_addc_co_u32_e32 v3, vcc, 0, v7, vcc
	v_add_co_u32_e32 v2, vcc, v2, v6
	v_addc_co_u32_e32 v3, vcc, 0, v3, vcc
	v_mul_lo_u32 v6, s19, v2
	v_mul_lo_u32 v7, s18, v3
	v_mad_u64_u32 v[2:3], s[0:1], s18, v2, 0
	v_add3_u32 v3, v3, v7, v6
	v_sub_u32_e32 v6, v12, v3
	v_mov_b32_e32 v7, s19
	v_sub_co_u32_e32 v2, vcc, v9, v2
	v_subb_co_u32_e64 v6, s[0:1], v6, v7, vcc
	v_subrev_co_u32_e64 v9, s[0:1], s18, v2
	v_subbrev_co_u32_e64 v13, s[2:3], 0, v6, s[0:1]
	v_cmp_le_u32_e64 s[2:3], s19, v13
	v_cndmask_b32_e64 v14, 0, -1, s[2:3]
	v_cmp_le_u32_e64 s[2:3], s18, v9
	v_subb_co_u32_e64 v6, s[0:1], v6, v7, s[0:1]
	v_cndmask_b32_e64 v15, 0, -1, s[2:3]
	v_cmp_eq_u32_e64 s[2:3], s19, v13
	v_subrev_co_u32_e64 v7, s[0:1], s18, v9
	v_subb_co_u32_e32 v3, vcc, v12, v3, vcc
	v_cndmask_b32_e64 v14, v14, v15, s[2:3]
	v_subbrev_co_u32_e64 v6, s[0:1], 0, v6, s[0:1]
	v_cmp_le_u32_e32 vcc, s19, v3
	v_cmp_ne_u32_e64 s[0:1], 0, v14
	v_cndmask_b32_e64 v12, 0, -1, vcc
	v_cmp_le_u32_e32 vcc, s18, v2
	v_cndmask_b32_e64 v6, v13, v6, s[0:1]
	v_cndmask_b32_e64 v13, 0, -1, vcc
	v_cmp_eq_u32_e32 vcc, s19, v3
	v_cndmask_b32_e32 v12, v12, v13, vcc
	v_cmp_ne_u32_e32 vcc, 0, v12
	v_cndmask_b32_e32 v3, v3, v6, vcc
	v_cndmask_b32_e64 v6, v9, v7, s[0:1]
	v_cndmask_b32_e32 v2, v2, v6, vcc
	v_xor_b32_e32 v2, v2, v8
	v_xor_b32_e32 v3, v3, v8
	v_sub_co_u32_e32 v2, vcc, v2, v8
	v_subb_co_u32_e32 v3, vcc, v3, v8, vcc
.LBB4_11:
	s_andn2_saveexec_b64 s[0:1], s[16:17]
	s_cbranch_execz .LBB4_13
; %bb.12:
	v_cvt_f32_u32_e32 v2, s14
	s_sub_i32 s2, 0, s14
	v_rcp_iflag_f32_e32 v2, v2
	v_mul_f32_e32 v2, 0x4f7ffffe, v2
	v_cvt_u32_f32_e32 v2, v2
	v_mul_lo_u32 v3, s2, v2
	v_mul_hi_u32 v3, v2, v3
	v_add_u32_e32 v2, v2, v3
	v_mul_hi_u32 v2, v10, v2
	v_mul_lo_u32 v2, v2, s14
	v_sub_u32_e32 v2, v10, v2
	v_subrev_u32_e32 v3, s14, v2
	v_cmp_le_u32_e32 vcc, s14, v2
	v_cndmask_b32_e32 v2, v2, v3, vcc
	v_subrev_u32_e32 v3, s14, v2
	v_cmp_le_u32_e32 vcc, s14, v2
	v_cndmask_b32_e32 v2, v2, v3, vcc
	v_mov_b32_e32 v3, 0
.LBB4_13:
	s_or_b64 exec, exec, s[0:1]
	s_load_dwordx4 s[16:19], s[4:5], 0x128
	s_load_dwordx4 s[0:3], s[4:5], 0x140
	s_load_dwordx2 s[20:21], s[4:5], 0x150
	s_load_dwordx2 s[22:23], s[4:5], 0x108
	;; [unrolled: 1-line block ×3, first 2 shown]
	s_waitcnt lgkmcnt(0)
	s_mul_i32 s6, s17, s8
	s_mul_hi_u32 s9, s16, s8
	s_add_i32 s17, s9, s6
	s_mul_i32 s16, s16, s8
	s_lshl_b64 s[16:17], s[16:17], 3
	s_add_u32 s6, s22, s16
	s_addc_u32 s9, s23, s17
	s_mul_i32 s16, s19, s7
	s_mul_hi_u32 s17, s18, s7
	s_add_i32 s17, s17, s16
	s_mul_i32 s16, s18, s7
	s_lshl_b64 s[16:17], s[16:17], 3
	s_add_u32 s16, s6, s16
	s_addc_u32 s17, s9, s17
	s_sub_u32 s18, s24, s0
	s_subb_u32 s19, s25, s1
	s_add_u32 s22, s12, -1
	s_addc_u32 s23, s13, -1
	v_cmp_ne_u64_e32 vcc, s[22:23], v[0:1]
	v_mov_b32_e32 v6, s18
	v_mov_b32_e32 v7, s19
	s_and_saveexec_b64 s[12:13], vcc
	s_cbranch_execz .LBB4_15
; %bb.14:
	v_cvt_f64_i32_e32 v[6:7], s19
	v_cvt_f64_i32_e32 v[8:9], s23
	v_cvt_f64_u32_e32 v[12:13], s18
	v_cvt_f64_u32_e32 v[14:15], s22
	v_ldexp_f64 v[6:7], v[6:7], 32
	v_ldexp_f64 v[8:9], v[8:9], 32
	s_movk_i32 s6, 0xffe0
	v_add_f64 v[6:7], v[6:7], v[12:13]
	v_add_f64 v[8:9], v[8:9], v[14:15]
	v_div_scale_f64 v[12:13], s[18:19], v[8:9], v[8:9], v[6:7]
	s_load_dwordx2 s[18:19], s[16:17], 0x0
	v_rcp_f64_e32 v[14:15], v[12:13]
	v_fma_f64 v[16:17], -v[12:13], v[14:15], 1.0
	v_fma_f64 v[14:15], v[14:15], v[16:17], v[14:15]
	v_div_scale_f64 v[16:17], vcc, v[6:7], v[8:9], v[6:7]
	v_fma_f64 v[18:19], -v[12:13], v[14:15], 1.0
	v_fma_f64 v[14:15], v[14:15], v[18:19], v[14:15]
	v_mul_f64 v[18:19], v[16:17], v[14:15]
	v_fma_f64 v[12:13], -v[12:13], v[18:19], v[16:17]
	v_cvt_f64_i32_e32 v[16:17], v1
	v_ldexp_f64 v[16:17], v[16:17], 32
	v_div_fmas_f64 v[12:13], v[12:13], v[14:15], v[18:19]
	v_cvt_f64_u32_e32 v[14:15], v0
	v_add_f64 v[14:15], v[16:17], v[14:15]
	s_waitcnt lgkmcnt(0)
	v_add_f64 v[14:15], s[18:19], v[14:15]
	v_div_fixup_f64 v[6:7], v[12:13], v[8:9], v[6:7]
	v_mul_f64 v[8:9], v[6:7], v[14:15]
	v_mul_f64 v[6:7], v[6:7], s[18:19]
	s_mov_b32 s18, 0
	s_mov_b32 s19, 0xc1f00000
	v_trunc_f64_e32 v[8:9], v[8:9]
	v_trunc_f64_e32 v[6:7], v[6:7]
	v_ldexp_f64 v[12:13], v[8:9], s6
	v_ldexp_f64 v[14:15], v[6:7], s6
	v_floor_f64_e32 v[12:13], v[12:13]
	v_floor_f64_e32 v[14:15], v[14:15]
	v_fma_f64 v[8:9], v[12:13], s[18:19], v[8:9]
	v_fma_f64 v[6:7], v[14:15], s[18:19], v[6:7]
	v_cvt_u32_f64_e32 v8, v[8:9]
	v_cvt_u32_f64_e32 v6, v[6:7]
	v_cvt_i32_f64_e32 v7, v[12:13]
	v_cvt_i32_f64_e32 v9, v[14:15]
	v_sub_co_u32_e32 v6, vcc, v8, v6
	v_subb_co_u32_e32 v7, vcc, v7, v9, vcc
.LBB4_15:
	s_or_b64 exec, exec, s[12:13]
	s_load_dwordx2 s[26:27], s[4:5], 0x20
	s_load_dwordx2 s[12:13], s[4:5], 0x138
	s_waitcnt lgkmcnt(0)
	s_sub_u32 s18, s26, s2
	s_subb_u32 s19, s27, s3
	s_add_u32 s22, s14, -1
	s_addc_u32 s23, s15, -1
	v_cmp_ne_u64_e32 vcc, s[22:23], v[2:3]
	v_mov_b32_e32 v8, s18
	v_mov_b32_e32 v9, s19
	s_and_saveexec_b64 s[14:15], vcc
	s_cbranch_execz .LBB4_17
; %bb.16:
	v_cvt_f64_i32_e32 v[8:9], s19
	v_cvt_f64_i32_e32 v[12:13], s23
	v_cvt_f64_u32_e32 v[14:15], s18
	v_cvt_f64_u32_e32 v[16:17], s22
	v_ldexp_f64 v[8:9], v[8:9], 32
	v_ldexp_f64 v[12:13], v[12:13], 32
	s_movk_i32 s6, 0xffe0
	v_add_f64 v[8:9], v[8:9], v[14:15]
	v_add_f64 v[12:13], v[12:13], v[16:17]
	v_div_scale_f64 v[14:15], s[18:19], v[12:13], v[12:13], v[8:9]
	s_lshl_b64 s[18:19], s[12:13], 3
	s_add_u32 s18, s16, s18
	s_addc_u32 s19, s17, s19
	s_load_dwordx2 s[18:19], s[18:19], 0x0
	v_rcp_f64_e32 v[16:17], v[14:15]
	v_fma_f64 v[18:19], -v[14:15], v[16:17], 1.0
	v_fma_f64 v[16:17], v[16:17], v[18:19], v[16:17]
	v_div_scale_f64 v[18:19], vcc, v[8:9], v[12:13], v[8:9]
	v_fma_f64 v[20:21], -v[14:15], v[16:17], 1.0
	v_fma_f64 v[16:17], v[16:17], v[20:21], v[16:17]
	v_mul_f64 v[20:21], v[18:19], v[16:17]
	v_fma_f64 v[14:15], -v[14:15], v[20:21], v[18:19]
	v_cvt_f64_i32_e32 v[18:19], v3
	v_ldexp_f64 v[18:19], v[18:19], 32
	v_div_fmas_f64 v[14:15], v[14:15], v[16:17], v[20:21]
	v_cvt_f64_u32_e32 v[16:17], v2
	v_add_f64 v[16:17], v[18:19], v[16:17]
	s_waitcnt lgkmcnt(0)
	v_add_f64 v[16:17], s[18:19], v[16:17]
	v_div_fixup_f64 v[8:9], v[14:15], v[12:13], v[8:9]
	v_mul_f64 v[12:13], v[8:9], v[16:17]
	v_mul_f64 v[8:9], v[8:9], s[18:19]
	s_mov_b32 s18, 0
	s_mov_b32 s19, 0xc1f00000
	v_trunc_f64_e32 v[12:13], v[12:13]
	v_trunc_f64_e32 v[8:9], v[8:9]
	v_ldexp_f64 v[14:15], v[12:13], s6
	v_ldexp_f64 v[16:17], v[8:9], s6
	v_floor_f64_e32 v[14:15], v[14:15]
	v_floor_f64_e32 v[16:17], v[16:17]
	v_fma_f64 v[12:13], v[14:15], s[18:19], v[12:13]
	v_fma_f64 v[8:9], v[16:17], s[18:19], v[8:9]
	v_cvt_u32_f64_e32 v12, v[12:13]
	v_cvt_u32_f64_e32 v8, v[8:9]
	v_cvt_i32_f64_e32 v9, v[14:15]
	v_cvt_i32_f64_e32 v13, v[16:17]
	v_sub_co_u32_e32 v8, vcc, v12, v8
	v_subb_co_u32_e32 v9, vcc, v9, v13, vcc
.LBB4_17:
	s_or_b64 exec, exec, s[14:15]
	s_load_dwordx2 s[22:23], s[4:5], 0x28
	v_mul_lo_u32 v12, v11, s10
	v_mul_lo_u32 v13, v10, s11
	v_mad_u64_u32 v[10:11], s[14:15], v10, s10, 0
	s_waitcnt lgkmcnt(0)
	s_sub_u32 s14, s22, s20
	s_subb_u32 s15, s23, s21
	v_add3_u32 v11, v11, v13, v12
	v_sub_co_u32_e32 v4, vcc, v4, v10
	s_add_u32 s18, s10, -1
	v_subb_co_u32_e32 v5, vcc, v5, v11, vcc
	s_addc_u32 s19, s11, -1
	v_cmp_ne_u64_e32 vcc, s[18:19], v[4:5]
	v_mov_b32_e32 v12, s14
	v_mov_b32_e32 v13, s15
	s_and_saveexec_b64 s[10:11], vcc
	s_cbranch_execz .LBB4_19
; %bb.18:
	v_cvt_f64_i32_e32 v[10:11], s15
	v_cvt_f64_i32_e32 v[12:13], s19
	v_cvt_f64_u32_e32 v[14:15], s14
	v_cvt_f64_u32_e32 v[16:17], s18
	v_ldexp_f64 v[10:11], v[10:11], 32
	v_ldexp_f64 v[12:13], v[12:13], 32
	s_lshl_b64 s[12:13], s[12:13], 4
	s_add_u32 s12, s16, s12
	s_addc_u32 s13, s17, s13
	s_load_dwordx2 s[12:13], s[12:13], 0x0
	s_movk_i32 s6, 0xffe0
	v_add_f64 v[10:11], v[10:11], v[14:15]
	v_add_f64 v[12:13], v[12:13], v[16:17]
	v_div_scale_f64 v[14:15], s[14:15], v[12:13], v[12:13], v[10:11]
	v_rcp_f64_e32 v[16:17], v[14:15]
	v_fma_f64 v[18:19], -v[14:15], v[16:17], 1.0
	v_fma_f64 v[16:17], v[16:17], v[18:19], v[16:17]
	v_div_scale_f64 v[18:19], vcc, v[10:11], v[12:13], v[10:11]
	v_fma_f64 v[20:21], -v[14:15], v[16:17], 1.0
	v_fma_f64 v[16:17], v[16:17], v[20:21], v[16:17]
	v_mul_f64 v[20:21], v[18:19], v[16:17]
	v_fma_f64 v[14:15], -v[14:15], v[20:21], v[18:19]
	v_cvt_f64_u32_e32 v[18:19], v5
	v_ldexp_f64 v[18:19], v[18:19], 32
	v_div_fmas_f64 v[14:15], v[14:15], v[16:17], v[20:21]
	v_cvt_f64_u32_e32 v[16:17], v4
	v_add_f64 v[16:17], v[18:19], v[16:17]
	s_waitcnt lgkmcnt(0)
	v_add_f64 v[16:17], s[12:13], v[16:17]
	v_div_fixup_f64 v[10:11], v[14:15], v[12:13], v[10:11]
	v_mul_f64 v[12:13], v[10:11], v[16:17]
	v_mul_f64 v[10:11], v[10:11], s[12:13]
	s_mov_b32 s12, 0
	s_mov_b32 s13, 0xc1f00000
	v_trunc_f64_e32 v[12:13], v[12:13]
	v_trunc_f64_e32 v[10:11], v[10:11]
	v_ldexp_f64 v[14:15], v[12:13], s6
	v_ldexp_f64 v[16:17], v[10:11], s6
	v_floor_f64_e32 v[14:15], v[14:15]
	v_floor_f64_e32 v[16:17], v[16:17]
	v_fma_f64 v[12:13], v[14:15], s[12:13], v[12:13]
	v_fma_f64 v[10:11], v[16:17], s[12:13], v[10:11]
	v_cvt_u32_f64_e32 v12, v[12:13]
	v_cvt_u32_f64_e32 v10, v[10:11]
	v_cvt_i32_f64_e32 v11, v[14:15]
	v_cvt_i32_f64_e32 v13, v[16:17]
	v_sub_co_u32_e32 v12, vcc, v12, v10
	v_subb_co_u32_e32 v13, vcc, v11, v13, vcc
.LBB4_19:
	s_or_b64 exec, exec, s[10:11]
	v_mad_u64_u32 v[10:11], s[10:11], s26, v6, v[8:9]
	v_mul_lo_u32 v14, s26, v7
	v_mul_lo_u32 v15, s27, v6
	;; [unrolled: 1-line block ×3, first 2 shown]
	v_add3_u32 v11, v15, v11, v14
	v_mad_u64_u32 v[14:15], s[10:11], v10, s22, 0
	v_mul_lo_u32 v10, v11, s22
	v_cmp_lt_i64_e64 s[10:11], s[0:1], 1
	v_add3_u32 v15, v15, v16, v10
	v_add_co_u32_e32 v10, vcc, v12, v14
	v_addc_co_u32_e32 v11, vcc, v13, v15, vcc
	s_and_b64 vcc, exec, s[10:11]
	s_cbranch_vccnz .LBB4_37
; %bb.20:
	v_mov_b32_e32 v17, s1
	v_add_co_u32_e32 v16, vcc, s0, v6
	s_load_dwordx2 s[0:1], s[4:5], 0x50
	v_addc_co_u32_e32 v17, vcc, v7, v17, vcc
	s_load_dwordx8 s[12:19], s[4:5], 0x30
	v_mov_b32_e32 v19, s3
	v_add_co_u32_e32 v18, vcc, s2, v8
	v_cmp_gt_i64_e64 s[24:25], s[2:3], 0
	s_waitcnt lgkmcnt(0)
	v_mul_lo_u32 v24, v13, s0
	v_mul_lo_u32 v25, v12, s1
	v_mad_u64_u32 v[20:21], s[2:3], v12, s0, 0
	v_mul_lo_u32 v26, v9, s18
	v_mul_lo_u32 v27, v8, s19
	v_add3_u32 v21, v21, v25, v24
	v_mad_u64_u32 v[24:25], s[2:3], v8, s18, 0
	v_addc_co_u32_e32 v19, vcc, v9, v19, vcc
	v_add3_u32 v25, v25, v27, v26
	v_mov_b32_e32 v23, s21
	v_add_co_u32_e32 v22, vcc, s20, v12
	v_lshlrev_b64 v[20:21], 3, v[20:21]
	v_lshlrev_b64 v[24:25], 3, v[24:25]
	v_addc_co_u32_e32 v23, vcc, v13, v23, vcc
	s_add_u32 s2, s20, -8
	v_add_co_u32_e32 v24, vcc, v20, v24
	s_addc_u32 s3, s21, -1
	v_addc_co_u32_e32 v25, vcc, v21, v25, vcc
	v_mad_u64_u32 v[20:21], s[28:29], v6, s16, 0
	s_mul_i32 s6, s15, s7
	s_mul_hi_u32 s9, s14, s7
	v_mul_lo_u32 v26, v7, s16
	v_mul_lo_u32 v27, v6, s17
	v_cmp_gt_u64_e64 s[28:29], s[2:3], -7
	s_load_dwordx2 s[2:3], s[4:5], 0x0
	s_add_i32 s15, s9, s6
	s_mul_i32 s6, s13, s8
	s_mul_hi_u32 s9, s12, s8
	s_add_i32 s13, s9, s6
	s_mul_i32 s12, s12, s8
	s_lshl_b64 s[36:37], s[12:13], 3
	s_lshl_b64 s[12:13], s[16:17], 3
	;; [unrolled: 1-line block ×3, first 2 shown]
	s_mul_i32 s0, s26, s23
	s_mul_hi_u32 s1, s26, s22
	s_mul_i32 s14, s14, s7
	s_add_i32 s0, s1, s0
	s_mul_i32 s1, s27, s22
	v_add3_u32 v21, v21, v27, v26
	s_lshl_b64 s[34:35], s[14:15], 3
	s_lshl_b64 s[14:15], s[18:19], 3
	s_add_i32 s6, s0, s1
	v_lshlrev_b64 v[20:21], 3, v[20:21]
	s_waitcnt lgkmcnt(0)
	s_add_u32 s0, s2, s36
	s_addc_u32 s1, s3, s37
	v_add_co_u32_e32 v20, vcc, v24, v20
	s_add_u32 s0, s0, s34
	v_addc_co_u32_e32 v21, vcc, v25, v21, vcc
	s_addc_u32 s1, s1, s35
	v_mov_b32_e32 v25, s1
	v_add_co_u32_e32 v24, vcc, s0, v20
	v_cmp_gt_i64_e64 s[30:31], s[20:21], 0
	v_addc_co_u32_e32 v25, vcc, v25, v21, vcc
	v_mov_b32_e32 v20, 0
	v_mov_b32_e32 v27, v11
	s_mov_b64 s[10:11], 0
	s_mul_i32 s9, s26, s22
	v_mov_b32_e32 v21, 0xfff00000
	v_mov_b32_e32 v26, v10
	s_branch .LBB4_23
.LBB4_21:                               ;   in Loop: Header=BB4_23 Depth=1
	s_or_b64 exec, exec, s[18:19]
	v_mov_b32_e32 v20, v38
	v_mov_b32_e32 v26, v36
	;; [unrolled: 1-line block ×4, first 2 shown]
.LBB4_22:                               ;   in Loop: Header=BB4_23 Depth=1
	v_add_co_u32_e32 v6, vcc, 1, v6
	v_addc_co_u32_e32 v7, vcc, 0, v7, vcc
	v_mov_b32_e32 v28, s6
	v_add_co_u32_e32 v10, vcc, s9, v10
	v_addc_co_u32_e32 v11, vcc, v11, v28, vcc
	v_add_co_u32_e32 v14, vcc, s9, v14
	v_addc_co_u32_e32 v15, vcc, v15, v28, vcc
	v_cmp_ge_i64_e32 vcc, v[6:7], v[16:17]
	v_mov_b32_e32 v28, s13
	s_or_b64 s[10:11], vcc, s[10:11]
	v_add_co_u32_e32 v24, vcc, s12, v24
	v_addc_co_u32_e32 v25, vcc, v25, v28, vcc
	s_andn2_b64 exec, exec, s[10:11]
	s_cbranch_execz .LBB4_36
.LBB4_23:                               ; =>This Loop Header: Depth=1
                                        ;     Child Loop BB4_27 Depth 2
                                        ;       Child Loop BB4_29 Depth 3
                                        ;       Child Loop BB4_34 Depth 3
	s_andn2_b64 vcc, exec, s[24:25]
	s_cbranch_vccnz .LBB4_22
; %bb.24:                               ;   in Loop: Header=BB4_23 Depth=1
	v_mov_b32_e32 v29, v25
	v_mov_b32_e32 v31, v15
	;; [unrolled: 1-line block ×4, first 2 shown]
	s_mov_b64 s[18:19], 0
	v_mov_b32_e32 v28, v24
	v_mov_b32_e32 v30, v14
	v_mov_b32_e32 v32, v10
	v_mov_b32_e32 v34, v8
	s_branch .LBB4_27
.LBB4_25:                               ;   in Loop: Header=BB4_27 Depth=2
	v_mov_b32_e32 v37, v27
	v_mov_b32_e32 v39, v21
	;; [unrolled: 1-line block ×4, first 2 shown]
.LBB4_26:                               ;   in Loop: Header=BB4_27 Depth=2
	v_add_co_u32_e32 v34, vcc, 1, v34
	v_addc_co_u32_e32 v35, vcc, 0, v35, vcc
	v_mov_b32_e32 v20, s15
	v_add_co_u32_e32 v28, vcc, s14, v28
	v_addc_co_u32_e32 v29, vcc, v29, v20, vcc
	v_mov_b32_e32 v20, s23
	v_add_co_u32_e32 v32, vcc, s22, v32
	v_addc_co_u32_e32 v33, vcc, v33, v20, vcc
	v_cmp_ge_i64_e32 vcc, v[34:35], v[18:19]
	v_add_co_u32_e64 v30, s[0:1], s22, v30
	v_addc_co_u32_e64 v31, s[0:1], v31, v20, s[0:1]
	v_mov_b32_e32 v20, v38
	v_mov_b32_e32 v26, v36
	s_or_b64 s[18:19], vcc, s[18:19]
	v_mov_b32_e32 v21, v39
	v_mov_b32_e32 v27, v37
	s_andn2_b64 exec, exec, s[18:19]
	s_cbranch_execz .LBB4_21
.LBB4_27:                               ;   Parent Loop BB4_23 Depth=1
                                        ; =>  This Loop Header: Depth=2
                                        ;       Child Loop BB4_29 Depth 3
                                        ;       Child Loop BB4_34 Depth 3
	v_cndmask_b32_e64 v36, 0, 1, s[30:31]
	s_mov_b64 s[2:3], -1
	s_andn2_b64 vcc, exec, s[28:29]
	v_cmp_ne_u32_e64 s[0:1], 1, v36
                                        ; implicit-def: $vgpr38_vgpr39
                                        ; implicit-def: $vgpr36_vgpr37
	s_cbranch_vccnz .LBB4_31
; %bb.28:                               ;   in Loop: Header=BB4_27 Depth=2
	v_mov_b32_e32 v39, v21
	v_mov_b32_e32 v37, v27
	;; [unrolled: 1-line block ×4, first 2 shown]
	s_and_b64 vcc, exec, s[0:1]
	v_mov_b32_e32 v38, v20
	v_mov_b32_e32 v36, v26
	;; [unrolled: 1-line block ×4, first 2 shown]
	s_mov_b64 s[26:27], s[20:21]
	s_cbranch_vccnz .LBB4_30
.LBB4_29:                               ;   Parent Loop BB4_23 Depth=1
                                        ;     Parent Loop BB4_27 Depth=2
                                        ; =>    This Inner Loop Header: Depth=3
	global_load_dwordx2 v[44:45], v[42:43], off
	v_mov_b32_e32 v46, s17
	v_add_co_u32_e32 v42, vcc, s16, v42
	v_addc_co_u32_e32 v43, vcc, v43, v46, vcc
	s_waitcnt vmcnt(0)
	v_cmp_gt_f64_e32 vcc, v[44:45], v[38:39]
	v_cmp_u_f64_e64 s[2:3], v[44:45], v[44:45]
	s_or_b64 vcc, vcc, s[2:3]
	s_add_u32 s26, s26, -1
	v_cndmask_b32_e32 v37, v37, v41, vcc
	v_cndmask_b32_e32 v36, v36, v40, vcc
	;; [unrolled: 1-line block ×4, first 2 shown]
	v_add_co_u32_e32 v40, vcc, 1, v40
	s_addc_u32 s27, s27, -1
	s_cmp_lg_u64 s[26:27], 0
	v_addc_co_u32_e32 v41, vcc, 0, v41, vcc
	s_cbranch_scc1 .LBB4_29
.LBB4_30:                               ;   in Loop: Header=BB4_27 Depth=2
	s_mov_b64 s[2:3], 0
.LBB4_31:                               ;   in Loop: Header=BB4_27 Depth=2
	s_andn2_b64 vcc, exec, s[2:3]
	s_cbranch_vccnz .LBB4_26
; %bb.32:                               ;   in Loop: Header=BB4_27 Depth=2
	s_and_b64 vcc, exec, s[0:1]
	s_cbranch_vccnz .LBB4_25
; %bb.33:                               ;   in Loop: Header=BB4_27 Depth=2
	v_mov_b32_e32 v37, v29
	v_mov_b32_e32 v39, v13
	s_mov_b64 s[26:27], 0
	v_mov_b32_e32 v36, v28
	v_mov_b32_e32 v38, v12
.LBB4_34:                               ;   Parent Loop BB4_23 Depth=1
                                        ;     Parent Loop BB4_27 Depth=2
                                        ; =>    This Inner Loop Header: Depth=3
	global_load_dwordx2 v[40:41], v[36:37], off
	v_add_co_u32_e32 v42, vcc, v30, v38
	v_addc_co_u32_e32 v43, vcc, v31, v39, vcc
	v_add_co_u32_e32 v38, vcc, 1, v38
	v_addc_co_u32_e32 v39, vcc, 0, v39, vcc
	v_mov_b32_e32 v44, s17
	v_add_co_u32_e64 v36, s[2:3], s16, v36
	v_addc_co_u32_e64 v37, s[2:3], v37, v44, s[2:3]
	v_cmp_ge_i64_e64 s[2:3], v[38:39], v[22:23]
	s_waitcnt vmcnt(0)
	v_cmp_gt_f64_e32 vcc, v[40:41], v[20:21]
	v_cmp_u_f64_e64 s[0:1], v[40:41], v[40:41]
	s_or_b64 vcc, vcc, s[0:1]
	v_cndmask_b32_e32 v27, v27, v43, vcc
	v_cndmask_b32_e32 v26, v26, v42, vcc
	;; [unrolled: 1-line block ×3, first 2 shown]
	s_or_b64 s[26:27], s[2:3], s[26:27]
	v_cndmask_b32_e32 v20, v20, v40, vcc
	s_andn2_b64 exec, exec, s[26:27]
	s_cbranch_execnz .LBB4_34
; %bb.35:                               ;   in Loop: Header=BB4_27 Depth=2
	s_or_b64 exec, exec, s[26:27]
	s_branch .LBB4_25
.LBB4_36:
	s_or_b64 exec, exec, s[10:11]
	v_mov_b32_e32 v10, v26
	v_mov_b32_e32 v11, v27
	s_branch .LBB4_38
.LBB4_37:
	v_mov_b32_e32 v20, 0
	v_mov_b32_e32 v21, 0xfff00000
.LBB4_38:
	s_load_dwordx8 s[20:27], s[4:5], 0xe0
	s_load_dwordx4 s[0:3], s[4:5], 0xa8
	s_load_dwordx2 s[10:11], s[4:5], 0x58
	s_load_dwordx8 s[12:19], s[4:5], 0x88
	s_load_dwordx2 s[28:29], s[4:5], 0x100
	s_waitcnt lgkmcnt(0)
	s_mul_i32 s4, s21, s8
	s_mul_hi_u32 s5, s20, s8
	s_add_i32 s5, s5, s4
	s_mul_i32 s4, s20, s8
	s_lshl_b64 s[4:5], s[4:5], 3
	s_add_u32 s6, s2, s4
	s_addc_u32 s9, s3, s5
	s_mul_i32 s2, s23, s7
	s_mul_hi_u32 s3, s22, s7
	s_add_i32 s3, s3, s2
	s_mul_i32 s2, s22, s7
	v_mul_lo_u32 v8, s25, v0
	v_mul_lo_u32 v9, s24, v1
	v_mad_u64_u32 v[6:7], s[4:5], s24, v0, 0
	s_lshl_b64 s[2:3], s[2:3], 3
	s_add_u32 s4, s6, s2
	s_addc_u32 s2, s9, s3
	v_add3_u32 v7, v7, v9, v8
	v_mov_b32_e32 v12, s2
	v_mul_lo_u32 v13, s27, v2
	v_mul_lo_u32 v14, s26, v3
	v_mad_u64_u32 v[8:9], s[2:3], s26, v2, 0
	v_lshlrev_b64 v[6:7], 3, v[6:7]
	v_add_co_u32_e32 v15, vcc, s4, v6
	v_add3_u32 v9, v9, v14, v13
	v_addc_co_u32_e32 v12, vcc, v12, v7, vcc
	v_lshlrev_b64 v[6:7], 3, v[8:9]
	v_mul_lo_u32 v13, s29, v4
	v_mul_lo_u32 v14, s28, v5
	v_mad_u64_u32 v[8:9], s[2:3], s28, v4, 0
	v_add_co_u32_e32 v15, vcc, v15, v6
	v_add3_u32 v9, v9, v14, v13
	s_mul_i32 s2, s13, s8
	s_mul_hi_u32 s3, s12, s8
	v_addc_co_u32_e32 v12, vcc, v12, v7, vcc
	v_lshlrev_b64 v[6:7], 3, v[8:9]
	s_add_i32 s3, s3, s2
	s_mul_i32 s2, s12, s8
	s_lshl_b64 s[2:3], s[2:3], 3
	v_add_co_u32_e32 v6, vcc, v15, v6
	s_add_u32 s6, s10, s2
	v_addc_co_u32_e32 v7, vcc, v12, v7, vcc
	s_addc_u32 s8, s11, s3
	s_mul_i32 s2, s15, s7
	s_mul_hi_u32 s3, s14, s7
	global_store_dwordx2 v[6:7], v[10:11], off
	s_add_i32 s3, s3, s2
	s_mul_i32 s2, s14, s7
	v_mul_lo_u32 v6, s17, v0
	v_mul_lo_u32 v7, s16, v1
	v_mad_u64_u32 v[0:1], s[4:5], s16, v0, 0
	s_lshl_b64 s[2:3], s[2:3], 3
	s_add_u32 s4, s6, s2
	s_addc_u32 s2, s8, s3
	v_add3_u32 v1, v1, v7, v6
	v_mov_b32_e32 v6, s2
	v_mul_lo_u32 v7, s19, v2
	v_mul_lo_u32 v8, s18, v3
	v_mad_u64_u32 v[2:3], s[2:3], s18, v2, 0
	v_lshlrev_b64 v[0:1], 3, v[0:1]
	v_mul_lo_u32 v5, s0, v5
	v_add_co_u32_e32 v9, vcc, s4, v0
	v_add3_u32 v3, v3, v8, v7
	v_addc_co_u32_e32 v6, vcc, v6, v1, vcc
	v_lshlrev_b64 v[0:1], 3, v[2:3]
	v_mul_lo_u32 v7, s1, v4
	v_mad_u64_u32 v[2:3], s[0:1], s0, v4, 0
	v_add_co_u32_e32 v4, vcc, v9, v0
	v_add3_u32 v3, v3, v5, v7
	v_addc_co_u32_e32 v6, vcc, v6, v1, vcc
	v_lshlrev_b64 v[0:1], 3, v[2:3]
	v_add_co_u32_e32 v0, vcc, v4, v0
	v_addc_co_u32_e32 v1, vcc, v6, v1, vcc
	global_store_dwordx2 v[0:1], v[20:21], off
.LBB4_39:
	s_endpgm
	.section	.rodata,"a",@progbits
	.p2align	6, 0x0
	.amdhsa_kernel _ZN2at6native12_GLOBAL__N_131fractional_max_pool3d_out_frameIdEEvN5torch10headeronly6detail27GenericPackedTensorAccessorINS5_14TensorAccessorIN3c108ArrayRefIlEEKT_Lm4ENS4_16DefaultPtrTraitsElEENS_6detail16IndexBoundsCheckILm5ElEESC_Lm5ESD_lEENS6_INS7_ISA_SB_Lm4ESD_lEESH_SB_Lm5ESD_lEENS6_INS7_ISA_lLm4ESD_lEESH_lLm5ESD_lEENS6_INS7_ISA_SC_Lm2ESD_lEENSG_ILm3ElEESC_Lm3ESD_lEElll
		.amdhsa_group_segment_fixed_size 0
		.amdhsa_private_segment_fixed_size 0
		.amdhsa_kernarg_size 600
		.amdhsa_user_sgpr_count 6
		.amdhsa_user_sgpr_private_segment_buffer 1
		.amdhsa_user_sgpr_dispatch_ptr 0
		.amdhsa_user_sgpr_queue_ptr 0
		.amdhsa_user_sgpr_kernarg_segment_ptr 1
		.amdhsa_user_sgpr_dispatch_id 0
		.amdhsa_user_sgpr_flat_scratch_init 0
		.amdhsa_user_sgpr_private_segment_size 0
		.amdhsa_uses_dynamic_stack 0
		.amdhsa_system_sgpr_private_segment_wavefront_offset 0
		.amdhsa_system_sgpr_workgroup_id_x 1
		.amdhsa_system_sgpr_workgroup_id_y 1
		.amdhsa_system_sgpr_workgroup_id_z 1
		.amdhsa_system_sgpr_workgroup_info 0
		.amdhsa_system_vgpr_workitem_id 0
		.amdhsa_next_free_vgpr 47
		.amdhsa_next_free_sgpr 38
		.amdhsa_reserve_vcc 1
		.amdhsa_reserve_flat_scratch 0
		.amdhsa_float_round_mode_32 0
		.amdhsa_float_round_mode_16_64 0
		.amdhsa_float_denorm_mode_32 3
		.amdhsa_float_denorm_mode_16_64 3
		.amdhsa_dx10_clamp 1
		.amdhsa_ieee_mode 1
		.amdhsa_fp16_overflow 0
		.amdhsa_exception_fp_ieee_invalid_op 0
		.amdhsa_exception_fp_denorm_src 0
		.amdhsa_exception_fp_ieee_div_zero 0
		.amdhsa_exception_fp_ieee_overflow 0
		.amdhsa_exception_fp_ieee_underflow 0
		.amdhsa_exception_fp_ieee_inexact 0
		.amdhsa_exception_int_div_zero 0
	.end_amdhsa_kernel
	.section	.text._ZN2at6native12_GLOBAL__N_131fractional_max_pool3d_out_frameIdEEvN5torch10headeronly6detail27GenericPackedTensorAccessorINS5_14TensorAccessorIN3c108ArrayRefIlEEKT_Lm4ENS4_16DefaultPtrTraitsElEENS_6detail16IndexBoundsCheckILm5ElEESC_Lm5ESD_lEENS6_INS7_ISA_SB_Lm4ESD_lEESH_SB_Lm5ESD_lEENS6_INS7_ISA_lLm4ESD_lEESH_lLm5ESD_lEENS6_INS7_ISA_SC_Lm2ESD_lEENSG_ILm3ElEESC_Lm3ESD_lEElll,"axG",@progbits,_ZN2at6native12_GLOBAL__N_131fractional_max_pool3d_out_frameIdEEvN5torch10headeronly6detail27GenericPackedTensorAccessorINS5_14TensorAccessorIN3c108ArrayRefIlEEKT_Lm4ENS4_16DefaultPtrTraitsElEENS_6detail16IndexBoundsCheckILm5ElEESC_Lm5ESD_lEENS6_INS7_ISA_SB_Lm4ESD_lEESH_SB_Lm5ESD_lEENS6_INS7_ISA_lLm4ESD_lEESH_lLm5ESD_lEENS6_INS7_ISA_SC_Lm2ESD_lEENSG_ILm3ElEESC_Lm3ESD_lEElll,comdat
.Lfunc_end4:
	.size	_ZN2at6native12_GLOBAL__N_131fractional_max_pool3d_out_frameIdEEvN5torch10headeronly6detail27GenericPackedTensorAccessorINS5_14TensorAccessorIN3c108ArrayRefIlEEKT_Lm4ENS4_16DefaultPtrTraitsElEENS_6detail16IndexBoundsCheckILm5ElEESC_Lm5ESD_lEENS6_INS7_ISA_SB_Lm4ESD_lEESH_SB_Lm5ESD_lEENS6_INS7_ISA_lLm4ESD_lEESH_lLm5ESD_lEENS6_INS7_ISA_SC_Lm2ESD_lEENSG_ILm3ElEESC_Lm3ESD_lEElll, .Lfunc_end4-_ZN2at6native12_GLOBAL__N_131fractional_max_pool3d_out_frameIdEEvN5torch10headeronly6detail27GenericPackedTensorAccessorINS5_14TensorAccessorIN3c108ArrayRefIlEEKT_Lm4ENS4_16DefaultPtrTraitsElEENS_6detail16IndexBoundsCheckILm5ElEESC_Lm5ESD_lEENS6_INS7_ISA_SB_Lm4ESD_lEESH_SB_Lm5ESD_lEENS6_INS7_ISA_lLm4ESD_lEESH_lLm5ESD_lEENS6_INS7_ISA_SC_Lm2ESD_lEENSG_ILm3ElEESC_Lm3ESD_lEElll
                                        ; -- End function
	.set _ZN2at6native12_GLOBAL__N_131fractional_max_pool3d_out_frameIdEEvN5torch10headeronly6detail27GenericPackedTensorAccessorINS5_14TensorAccessorIN3c108ArrayRefIlEEKT_Lm4ENS4_16DefaultPtrTraitsElEENS_6detail16IndexBoundsCheckILm5ElEESC_Lm5ESD_lEENS6_INS7_ISA_SB_Lm4ESD_lEESH_SB_Lm5ESD_lEENS6_INS7_ISA_lLm4ESD_lEESH_lLm5ESD_lEENS6_INS7_ISA_SC_Lm2ESD_lEENSG_ILm3ElEESC_Lm3ESD_lEElll.num_vgpr, 47
	.set _ZN2at6native12_GLOBAL__N_131fractional_max_pool3d_out_frameIdEEvN5torch10headeronly6detail27GenericPackedTensorAccessorINS5_14TensorAccessorIN3c108ArrayRefIlEEKT_Lm4ENS4_16DefaultPtrTraitsElEENS_6detail16IndexBoundsCheckILm5ElEESC_Lm5ESD_lEENS6_INS7_ISA_SB_Lm4ESD_lEESH_SB_Lm5ESD_lEENS6_INS7_ISA_lLm4ESD_lEESH_lLm5ESD_lEENS6_INS7_ISA_SC_Lm2ESD_lEENSG_ILm3ElEESC_Lm3ESD_lEElll.num_agpr, 0
	.set _ZN2at6native12_GLOBAL__N_131fractional_max_pool3d_out_frameIdEEvN5torch10headeronly6detail27GenericPackedTensorAccessorINS5_14TensorAccessorIN3c108ArrayRefIlEEKT_Lm4ENS4_16DefaultPtrTraitsElEENS_6detail16IndexBoundsCheckILm5ElEESC_Lm5ESD_lEENS6_INS7_ISA_SB_Lm4ESD_lEESH_SB_Lm5ESD_lEENS6_INS7_ISA_lLm4ESD_lEESH_lLm5ESD_lEENS6_INS7_ISA_SC_Lm2ESD_lEENSG_ILm3ElEESC_Lm3ESD_lEElll.numbered_sgpr, 38
	.set _ZN2at6native12_GLOBAL__N_131fractional_max_pool3d_out_frameIdEEvN5torch10headeronly6detail27GenericPackedTensorAccessorINS5_14TensorAccessorIN3c108ArrayRefIlEEKT_Lm4ENS4_16DefaultPtrTraitsElEENS_6detail16IndexBoundsCheckILm5ElEESC_Lm5ESD_lEENS6_INS7_ISA_SB_Lm4ESD_lEESH_SB_Lm5ESD_lEENS6_INS7_ISA_lLm4ESD_lEESH_lLm5ESD_lEENS6_INS7_ISA_SC_Lm2ESD_lEENSG_ILm3ElEESC_Lm3ESD_lEElll.num_named_barrier, 0
	.set _ZN2at6native12_GLOBAL__N_131fractional_max_pool3d_out_frameIdEEvN5torch10headeronly6detail27GenericPackedTensorAccessorINS5_14TensorAccessorIN3c108ArrayRefIlEEKT_Lm4ENS4_16DefaultPtrTraitsElEENS_6detail16IndexBoundsCheckILm5ElEESC_Lm5ESD_lEENS6_INS7_ISA_SB_Lm4ESD_lEESH_SB_Lm5ESD_lEENS6_INS7_ISA_lLm4ESD_lEESH_lLm5ESD_lEENS6_INS7_ISA_SC_Lm2ESD_lEENSG_ILm3ElEESC_Lm3ESD_lEElll.private_seg_size, 0
	.set _ZN2at6native12_GLOBAL__N_131fractional_max_pool3d_out_frameIdEEvN5torch10headeronly6detail27GenericPackedTensorAccessorINS5_14TensorAccessorIN3c108ArrayRefIlEEKT_Lm4ENS4_16DefaultPtrTraitsElEENS_6detail16IndexBoundsCheckILm5ElEESC_Lm5ESD_lEENS6_INS7_ISA_SB_Lm4ESD_lEESH_SB_Lm5ESD_lEENS6_INS7_ISA_lLm4ESD_lEESH_lLm5ESD_lEENS6_INS7_ISA_SC_Lm2ESD_lEENSG_ILm3ElEESC_Lm3ESD_lEElll.uses_vcc, 1
	.set _ZN2at6native12_GLOBAL__N_131fractional_max_pool3d_out_frameIdEEvN5torch10headeronly6detail27GenericPackedTensorAccessorINS5_14TensorAccessorIN3c108ArrayRefIlEEKT_Lm4ENS4_16DefaultPtrTraitsElEENS_6detail16IndexBoundsCheckILm5ElEESC_Lm5ESD_lEENS6_INS7_ISA_SB_Lm4ESD_lEESH_SB_Lm5ESD_lEENS6_INS7_ISA_lLm4ESD_lEESH_lLm5ESD_lEENS6_INS7_ISA_SC_Lm2ESD_lEENSG_ILm3ElEESC_Lm3ESD_lEElll.uses_flat_scratch, 0
	.set _ZN2at6native12_GLOBAL__N_131fractional_max_pool3d_out_frameIdEEvN5torch10headeronly6detail27GenericPackedTensorAccessorINS5_14TensorAccessorIN3c108ArrayRefIlEEKT_Lm4ENS4_16DefaultPtrTraitsElEENS_6detail16IndexBoundsCheckILm5ElEESC_Lm5ESD_lEENS6_INS7_ISA_SB_Lm4ESD_lEESH_SB_Lm5ESD_lEENS6_INS7_ISA_lLm4ESD_lEESH_lLm5ESD_lEENS6_INS7_ISA_SC_Lm2ESD_lEENSG_ILm3ElEESC_Lm3ESD_lEElll.has_dyn_sized_stack, 0
	.set _ZN2at6native12_GLOBAL__N_131fractional_max_pool3d_out_frameIdEEvN5torch10headeronly6detail27GenericPackedTensorAccessorINS5_14TensorAccessorIN3c108ArrayRefIlEEKT_Lm4ENS4_16DefaultPtrTraitsElEENS_6detail16IndexBoundsCheckILm5ElEESC_Lm5ESD_lEENS6_INS7_ISA_SB_Lm4ESD_lEESH_SB_Lm5ESD_lEENS6_INS7_ISA_lLm4ESD_lEESH_lLm5ESD_lEENS6_INS7_ISA_SC_Lm2ESD_lEENSG_ILm3ElEESC_Lm3ESD_lEElll.has_recursion, 0
	.set _ZN2at6native12_GLOBAL__N_131fractional_max_pool3d_out_frameIdEEvN5torch10headeronly6detail27GenericPackedTensorAccessorINS5_14TensorAccessorIN3c108ArrayRefIlEEKT_Lm4ENS4_16DefaultPtrTraitsElEENS_6detail16IndexBoundsCheckILm5ElEESC_Lm5ESD_lEENS6_INS7_ISA_SB_Lm4ESD_lEESH_SB_Lm5ESD_lEENS6_INS7_ISA_lLm4ESD_lEESH_lLm5ESD_lEENS6_INS7_ISA_SC_Lm2ESD_lEENSG_ILm3ElEESC_Lm3ESD_lEElll.has_indirect_call, 0
	.section	.AMDGPU.csdata,"",@progbits
; Kernel info:
; codeLenInByte = 4964
; TotalNumSgprs: 42
; NumVgprs: 47
; ScratchSize: 0
; MemoryBound: 0
; FloatMode: 240
; IeeeMode: 1
; LDSByteSize: 0 bytes/workgroup (compile time only)
; SGPRBlocks: 5
; VGPRBlocks: 11
; NumSGPRsForWavesPerEU: 42
; NumVGPRsForWavesPerEU: 47
; Occupancy: 5
; WaveLimiterHint : 1
; COMPUTE_PGM_RSRC2:SCRATCH_EN: 0
; COMPUTE_PGM_RSRC2:USER_SGPR: 6
; COMPUTE_PGM_RSRC2:TRAP_HANDLER: 0
; COMPUTE_PGM_RSRC2:TGID_X_EN: 1
; COMPUTE_PGM_RSRC2:TGID_Y_EN: 1
; COMPUTE_PGM_RSRC2:TGID_Z_EN: 1
; COMPUTE_PGM_RSRC2:TIDIG_COMP_CNT: 0
	.section	.text._ZN2at6native12_GLOBAL__N_131fractional_max_pool3d_out_frameIfEEvN5torch10headeronly6detail27GenericPackedTensorAccessorINS5_14TensorAccessorIN3c108ArrayRefIlEEKT_Lm4ENS4_16DefaultPtrTraitsElEENS_6detail16IndexBoundsCheckILm5ElEESC_Lm5ESD_lEENS6_INS7_ISA_SB_Lm4ESD_lEESH_SB_Lm5ESD_lEENS6_INS7_ISA_lLm4ESD_lEESH_lLm5ESD_lEENS6_INS7_ISA_SC_Lm2ESD_lEENSG_ILm3ElEESC_Lm3ESD_lEElll,"axG",@progbits,_ZN2at6native12_GLOBAL__N_131fractional_max_pool3d_out_frameIfEEvN5torch10headeronly6detail27GenericPackedTensorAccessorINS5_14TensorAccessorIN3c108ArrayRefIlEEKT_Lm4ENS4_16DefaultPtrTraitsElEENS_6detail16IndexBoundsCheckILm5ElEESC_Lm5ESD_lEENS6_INS7_ISA_SB_Lm4ESD_lEESH_SB_Lm5ESD_lEENS6_INS7_ISA_lLm4ESD_lEESH_lLm5ESD_lEENS6_INS7_ISA_SC_Lm2ESD_lEENSG_ILm3ElEESC_Lm3ESD_lEElll,comdat
	.globl	_ZN2at6native12_GLOBAL__N_131fractional_max_pool3d_out_frameIfEEvN5torch10headeronly6detail27GenericPackedTensorAccessorINS5_14TensorAccessorIN3c108ArrayRefIlEEKT_Lm4ENS4_16DefaultPtrTraitsElEENS_6detail16IndexBoundsCheckILm5ElEESC_Lm5ESD_lEENS6_INS7_ISA_SB_Lm4ESD_lEESH_SB_Lm5ESD_lEENS6_INS7_ISA_lLm4ESD_lEESH_lLm5ESD_lEENS6_INS7_ISA_SC_Lm2ESD_lEENSG_ILm3ElEESC_Lm3ESD_lEElll ; -- Begin function _ZN2at6native12_GLOBAL__N_131fractional_max_pool3d_out_frameIfEEvN5torch10headeronly6detail27GenericPackedTensorAccessorINS5_14TensorAccessorIN3c108ArrayRefIlEEKT_Lm4ENS4_16DefaultPtrTraitsElEENS_6detail16IndexBoundsCheckILm5ElEESC_Lm5ESD_lEENS6_INS7_ISA_SB_Lm4ESD_lEESH_SB_Lm5ESD_lEENS6_INS7_ISA_lLm4ESD_lEESH_lLm5ESD_lEENS6_INS7_ISA_SC_Lm2ESD_lEENSG_ILm3ElEESC_Lm3ESD_lEElll
	.p2align	8
	.type	_ZN2at6native12_GLOBAL__N_131fractional_max_pool3d_out_frameIfEEvN5torch10headeronly6detail27GenericPackedTensorAccessorINS5_14TensorAccessorIN3c108ArrayRefIlEEKT_Lm4ENS4_16DefaultPtrTraitsElEENS_6detail16IndexBoundsCheckILm5ElEESC_Lm5ESD_lEENS6_INS7_ISA_SB_Lm4ESD_lEESH_SB_Lm5ESD_lEENS6_INS7_ISA_lLm4ESD_lEESH_lLm5ESD_lEENS6_INS7_ISA_SC_Lm2ESD_lEENSG_ILm3ElEESC_Lm3ESD_lEElll,@function
_ZN2at6native12_GLOBAL__N_131fractional_max_pool3d_out_frameIfEEvN5torch10headeronly6detail27GenericPackedTensorAccessorINS5_14TensorAccessorIN3c108ArrayRefIlEEKT_Lm4ENS4_16DefaultPtrTraitsElEENS_6detail16IndexBoundsCheckILm5ElEESC_Lm5ESD_lEENS6_INS7_ISA_SB_Lm4ESD_lEESH_SB_Lm5ESD_lEENS6_INS7_ISA_lLm4ESD_lEESH_lLm5ESD_lEENS6_INS7_ISA_SC_Lm2ESD_lEENSG_ILm3ElEESC_Lm3ESD_lEElll: ; @_ZN2at6native12_GLOBAL__N_131fractional_max_pool3d_out_frameIfEEvN5torch10headeronly6detail27GenericPackedTensorAccessorINS5_14TensorAccessorIN3c108ArrayRefIlEEKT_Lm4ENS4_16DefaultPtrTraitsElEENS_6detail16IndexBoundsCheckILm5ElEESC_Lm5ESD_lEENS6_INS7_ISA_SB_Lm4ESD_lEESH_SB_Lm5ESD_lEENS6_INS7_ISA_lLm4ESD_lEESH_lLm5ESD_lEENS6_INS7_ISA_SC_Lm2ESD_lEENSG_ILm3ElEESC_Lm3ESD_lEElll
; %bb.0:
	s_load_dword s0, s[4:5], 0x164
	s_load_dwordx4 s[12:15], s[4:5], 0x70
	s_load_dwordx2 s[10:11], s[4:5], 0x80
	v_mov_b32_e32 v2, 0
	v_mov_b32_e32 v1, v2
	;; [unrolled: 1-line block ×3, first 2 shown]
	s_waitcnt lgkmcnt(0)
	s_and_b32 s0, s0, 0xffff
	v_mad_u64_u32 v[4:5], s[0:1], s0, v3, v[0:1]
	s_mul_i32 s0, s10, s15
	s_mul_hi_u32 s1, s10, s14
	s_add_i32 s0, s1, s0
	s_mul_i32 s1, s11, s14
	s_mul_i32 s6, s10, s14
	s_add_i32 s0, s0, s1
	s_mul_i32 s1, s6, s13
	s_mul_hi_u32 s2, s6, s12
	s_add_i32 s1, s2, s1
	s_mul_i32 s2, s0, s12
	s_add_i32 s3, s1, s2
	s_mul_i32 s2, s6, s12
	v_cmp_gt_i64_e32 vcc, s[2:3], v[4:5]
	s_and_saveexec_b64 s[2:3], vcc
	s_cbranch_execz .LBB5_39
; %bb.1:
	v_or_b32_e32 v3, s0, v5
	v_cmp_ne_u64_e32 vcc, 0, v[2:3]
	v_ashrrev_i32_e32 v2, 31, v5
                                        ; implicit-def: $vgpr0_vgpr1
	s_and_saveexec_b64 s[2:3], vcc
	s_xor_b64 s[2:3], exec, s[2:3]
	s_cbranch_execz .LBB5_3
; %bb.2:
	s_ashr_i32 s16, s0, 31
	s_add_u32 s18, s6, s16
	s_mov_b32 s17, s16
	s_addc_u32 s19, s0, s16
	s_xor_b64 s[18:19], s[18:19], s[16:17]
	v_cvt_f32_u32_e32 v0, s18
	v_cvt_f32_u32_e32 v1, s19
	s_sub_u32 s9, 0, s18
	s_subb_u32 s17, 0, s19
	v_madmk_f32 v0, v1, 0x4f800000, v0
	v_rcp_f32_e32 v0, v0
	v_mul_f32_e32 v0, 0x5f7ffffc, v0
	v_mul_f32_e32 v1, 0x2f800000, v0
	v_trunc_f32_e32 v1, v1
	v_madmk_f32 v0, v1, 0xcf800000, v0
	v_cvt_u32_f32_e32 v1, v1
	v_cvt_u32_f32_e32 v0, v0
	v_readfirstlane_b32 s20, v1
	v_readfirstlane_b32 s0, v0
	s_mul_i32 s1, s9, s20
	s_mul_hi_u32 s22, s9, s0
	s_mul_i32 s21, s17, s0
	s_add_i32 s1, s22, s1
	s_add_i32 s1, s1, s21
	s_mul_i32 s23, s9, s0
	s_mul_i32 s22, s0, s1
	s_mul_hi_u32 s24, s0, s23
	s_mul_hi_u32 s21, s0, s1
	s_add_u32 s22, s24, s22
	s_addc_u32 s21, 0, s21
	s_mul_hi_u32 s25, s20, s23
	s_mul_i32 s23, s20, s23
	s_add_u32 s22, s22, s23
	s_mul_hi_u32 s24, s20, s1
	s_addc_u32 s21, s21, s25
	s_addc_u32 s22, s24, 0
	s_mul_i32 s1, s20, s1
	s_add_u32 s1, s21, s1
	s_addc_u32 s21, 0, s22
	s_add_u32 s22, s0, s1
	s_cselect_b64 s[0:1], -1, 0
	s_cmp_lg_u64 s[0:1], 0
	s_addc_u32 s20, s20, s21
	s_mul_i32 s0, s9, s20
	s_mul_hi_u32 s1, s9, s22
	s_add_i32 s0, s1, s0
	s_mul_i32 s17, s17, s22
	s_add_i32 s0, s0, s17
	s_mul_i32 s9, s9, s22
	s_mul_hi_u32 s17, s20, s9
	s_mul_i32 s21, s20, s9
	s_mul_i32 s24, s22, s0
	s_mul_hi_u32 s9, s22, s9
	s_mul_hi_u32 s23, s22, s0
	s_add_u32 s9, s9, s24
	s_addc_u32 s23, 0, s23
	s_add_u32 s9, s9, s21
	s_mul_hi_u32 s1, s20, s0
	s_addc_u32 s9, s23, s17
	s_addc_u32 s1, s1, 0
	s_mul_i32 s0, s20, s0
	s_add_u32 s0, s9, s0
	s_addc_u32 s9, 0, s1
	s_add_u32 s17, s22, s0
	s_cselect_b64 s[0:1], -1, 0
	s_cmp_lg_u64 s[0:1], 0
	v_add_co_u32_e32 v0, vcc, v4, v2
	s_addc_u32 s9, s20, s9
	v_xor_b32_e32 v8, v0, v2
	v_mad_u64_u32 v[0:1], s[0:1], v8, s9, 0
	v_mul_hi_u32 v6, v8, s17
	v_addc_co_u32_e32 v3, vcc, v5, v2, vcc
	v_xor_b32_e32 v3, v3, v2
	v_add_co_u32_e32 v9, vcc, v6, v0
	v_addc_co_u32_e32 v10, vcc, 0, v1, vcc
	v_mad_u64_u32 v[0:1], s[0:1], v3, s17, 0
	v_mad_u64_u32 v[6:7], s[0:1], v3, s9, 0
	v_add_co_u32_e32 v0, vcc, v9, v0
	v_addc_co_u32_e32 v0, vcc, v10, v1, vcc
	v_addc_co_u32_e32 v1, vcc, 0, v7, vcc
	v_add_co_u32_e32 v6, vcc, v0, v6
	v_addc_co_u32_e32 v7, vcc, 0, v1, vcc
	v_mul_lo_u32 v9, s19, v6
	v_mul_lo_u32 v10, s18, v7
	v_mad_u64_u32 v[0:1], s[0:1], s18, v6, 0
	v_add3_u32 v1, v1, v10, v9
	v_sub_u32_e32 v9, v3, v1
	v_mov_b32_e32 v10, s19
	v_sub_co_u32_e32 v0, vcc, v8, v0
	v_subb_co_u32_e64 v8, s[0:1], v9, v10, vcc
	v_subrev_co_u32_e64 v9, s[0:1], s18, v0
	v_subbrev_co_u32_e64 v8, s[0:1], 0, v8, s[0:1]
	v_cmp_le_u32_e64 s[0:1], s19, v8
	v_cndmask_b32_e64 v10, 0, -1, s[0:1]
	v_cmp_le_u32_e64 s[0:1], s18, v9
	v_cndmask_b32_e64 v9, 0, -1, s[0:1]
	v_cmp_eq_u32_e64 s[0:1], s19, v8
	v_cndmask_b32_e64 v8, v10, v9, s[0:1]
	v_add_co_u32_e64 v9, s[0:1], 2, v6
	v_subb_co_u32_e32 v1, vcc, v3, v1, vcc
	v_addc_co_u32_e64 v10, s[0:1], 0, v7, s[0:1]
	v_cmp_le_u32_e32 vcc, s19, v1
	v_add_co_u32_e64 v11, s[0:1], 1, v6
	v_cndmask_b32_e64 v3, 0, -1, vcc
	v_cmp_le_u32_e32 vcc, s18, v0
	v_addc_co_u32_e64 v12, s[0:1], 0, v7, s[0:1]
	v_cndmask_b32_e64 v0, 0, -1, vcc
	v_cmp_eq_u32_e32 vcc, s19, v1
	v_cmp_ne_u32_e64 s[0:1], 0, v8
	v_cndmask_b32_e32 v0, v3, v0, vcc
	v_cndmask_b32_e64 v8, v12, v10, s[0:1]
	v_cmp_ne_u32_e32 vcc, 0, v0
	v_cndmask_b32_e64 v1, v11, v9, s[0:1]
	v_cndmask_b32_e32 v0, v7, v8, vcc
	v_cndmask_b32_e32 v1, v6, v1, vcc
	v_xor_b32_e32 v3, s16, v2
	v_xor_b32_e32 v6, v0, v3
	;; [unrolled: 1-line block ×3, first 2 shown]
	v_sub_co_u32_e32 v0, vcc, v0, v3
	v_subb_co_u32_e32 v1, vcc, v6, v3, vcc
.LBB5_3:
	s_andn2_saveexec_b64 s[0:1], s[2:3]
	s_cbranch_execz .LBB5_5
; %bb.4:
	v_cvt_f32_u32_e32 v0, s6
	s_sub_i32 s2, 0, s6
	v_rcp_iflag_f32_e32 v0, v0
	v_mul_f32_e32 v0, 0x4f7ffffe, v0
	v_cvt_u32_f32_e32 v0, v0
	v_mul_lo_u32 v1, s2, v0
	v_mul_hi_u32 v1, v0, v1
	v_add_u32_e32 v0, v0, v1
	v_mul_hi_u32 v0, v4, v0
	v_mul_lo_u32 v1, v0, s6
	v_add_u32_e32 v3, 1, v0
	v_sub_u32_e32 v1, v4, v1
	v_subrev_u32_e32 v6, s6, v1
	v_cmp_le_u32_e32 vcc, s6, v1
	v_cndmask_b32_e32 v1, v1, v6, vcc
	v_cndmask_b32_e32 v0, v0, v3, vcc
	v_add_u32_e32 v3, 1, v0
	v_cmp_le_u32_e32 vcc, s6, v1
	v_cndmask_b32_e32 v0, v0, v3, vcc
	v_mov_b32_e32 v1, 0
.LBB5_5:
	s_or_b64 exec, exec, s[0:1]
	v_or_b32_e32 v7, s11, v5
	v_mov_b32_e32 v6, 0
	v_cmp_ne_u64_e32 vcc, 0, v[6:7]
                                        ; implicit-def: $vgpr10_vgpr11
	s_and_saveexec_b64 s[0:1], vcc
	s_xor_b64 s[2:3], exec, s[0:1]
	s_cbranch_execz .LBB5_7
; %bb.6:
	s_ashr_i32 s16, s11, 31
	s_add_u32 s0, s10, s16
	s_mov_b32 s17, s16
	s_addc_u32 s1, s11, s16
	s_xor_b64 s[18:19], s[0:1], s[16:17]
	v_cvt_f32_u32_e32 v3, s18
	v_cvt_f32_u32_e32 v6, s19
	s_sub_u32 s6, 0, s18
	s_subb_u32 s9, 0, s19
	v_madmk_f32 v3, v6, 0x4f800000, v3
	v_rcp_f32_e32 v3, v3
	v_mul_f32_e32 v3, 0x5f7ffffc, v3
	v_mul_f32_e32 v6, 0x2f800000, v3
	v_trunc_f32_e32 v6, v6
	v_madmk_f32 v3, v6, 0xcf800000, v3
	v_cvt_u32_f32_e32 v6, v6
	v_cvt_u32_f32_e32 v3, v3
	v_readfirstlane_b32 s17, v6
	v_readfirstlane_b32 s0, v3
	s_mul_i32 s1, s6, s17
	s_mul_hi_u32 s21, s6, s0
	s_mul_i32 s20, s9, s0
	s_add_i32 s1, s21, s1
	s_add_i32 s1, s1, s20
	s_mul_i32 s22, s6, s0
	s_mul_i32 s21, s0, s1
	s_mul_hi_u32 s23, s0, s22
	s_mul_hi_u32 s20, s0, s1
	s_add_u32 s21, s23, s21
	s_addc_u32 s20, 0, s20
	s_mul_hi_u32 s24, s17, s22
	s_mul_i32 s22, s17, s22
	s_add_u32 s21, s21, s22
	s_mul_hi_u32 s23, s17, s1
	s_addc_u32 s20, s20, s24
	s_addc_u32 s21, s23, 0
	s_mul_i32 s1, s17, s1
	s_add_u32 s1, s20, s1
	s_addc_u32 s20, 0, s21
	s_add_u32 s21, s0, s1
	s_cselect_b64 s[0:1], -1, 0
	s_cmp_lg_u64 s[0:1], 0
	s_addc_u32 s17, s17, s20
	s_mul_i32 s0, s6, s17
	s_mul_hi_u32 s1, s6, s21
	s_add_i32 s0, s1, s0
	s_mul_i32 s9, s9, s21
	s_add_i32 s0, s0, s9
	s_mul_i32 s6, s6, s21
	s_mul_hi_u32 s9, s17, s6
	s_mul_i32 s20, s17, s6
	s_mul_i32 s23, s21, s0
	s_mul_hi_u32 s6, s21, s6
	s_mul_hi_u32 s22, s21, s0
	s_add_u32 s6, s6, s23
	s_addc_u32 s22, 0, s22
	s_add_u32 s6, s6, s20
	s_mul_hi_u32 s1, s17, s0
	s_addc_u32 s6, s22, s9
	s_addc_u32 s1, s1, 0
	s_mul_i32 s0, s17, s0
	s_add_u32 s0, s6, s0
	s_addc_u32 s6, 0, s1
	s_add_u32 s9, s21, s0
	s_cselect_b64 s[0:1], -1, 0
	s_cmp_lg_u64 s[0:1], 0
	v_add_co_u32_e32 v3, vcc, v4, v2
	s_addc_u32 s6, s17, s6
	v_xor_b32_e32 v3, v3, v2
	v_mad_u64_u32 v[6:7], s[0:1], v3, s6, 0
	v_mul_hi_u32 v9, v3, s9
	v_addc_co_u32_e32 v8, vcc, v5, v2, vcc
	v_xor_b32_e32 v10, v8, v2
	v_add_co_u32_e32 v11, vcc, v9, v6
	v_addc_co_u32_e32 v12, vcc, 0, v7, vcc
	v_mad_u64_u32 v[6:7], s[0:1], v10, s9, 0
	v_mad_u64_u32 v[8:9], s[0:1], v10, s6, 0
	v_add_co_u32_e32 v6, vcc, v11, v6
	v_addc_co_u32_e32 v6, vcc, v12, v7, vcc
	v_addc_co_u32_e32 v7, vcc, 0, v9, vcc
	v_add_co_u32_e32 v8, vcc, v6, v8
	v_addc_co_u32_e32 v9, vcc, 0, v7, vcc
	v_mul_lo_u32 v11, s19, v8
	v_mul_lo_u32 v12, s18, v9
	v_mad_u64_u32 v[6:7], s[0:1], s18, v8, 0
	v_xor_b32_e32 v2, s16, v2
	v_add3_u32 v7, v7, v12, v11
	v_sub_u32_e32 v11, v10, v7
	v_mov_b32_e32 v12, s19
	v_sub_co_u32_e32 v3, vcc, v3, v6
	v_subb_co_u32_e64 v6, s[0:1], v11, v12, vcc
	v_subrev_co_u32_e64 v11, s[0:1], s18, v3
	v_subbrev_co_u32_e64 v6, s[0:1], 0, v6, s[0:1]
	v_cmp_le_u32_e64 s[0:1], s19, v6
	v_cndmask_b32_e64 v12, 0, -1, s[0:1]
	v_cmp_le_u32_e64 s[0:1], s18, v11
	v_cndmask_b32_e64 v11, 0, -1, s[0:1]
	v_cmp_eq_u32_e64 s[0:1], s19, v6
	v_cndmask_b32_e64 v6, v12, v11, s[0:1]
	v_add_co_u32_e64 v11, s[0:1], 2, v8
	v_subb_co_u32_e32 v7, vcc, v10, v7, vcc
	v_addc_co_u32_e64 v12, s[0:1], 0, v9, s[0:1]
	v_cmp_le_u32_e32 vcc, s19, v7
	v_add_co_u32_e64 v13, s[0:1], 1, v8
	v_cndmask_b32_e64 v10, 0, -1, vcc
	v_cmp_le_u32_e32 vcc, s18, v3
	v_addc_co_u32_e64 v14, s[0:1], 0, v9, s[0:1]
	v_cndmask_b32_e64 v3, 0, -1, vcc
	v_cmp_eq_u32_e32 vcc, s19, v7
	v_cmp_ne_u32_e64 s[0:1], 0, v6
	v_cndmask_b32_e32 v3, v10, v3, vcc
	v_cndmask_b32_e64 v6, v14, v12, s[0:1]
	v_cmp_ne_u32_e32 vcc, 0, v3
	v_cndmask_b32_e32 v3, v9, v6, vcc
	v_cndmask_b32_e64 v6, v13, v11, s[0:1]
	v_cndmask_b32_e32 v6, v8, v6, vcc
	v_xor_b32_e32 v6, v6, v2
	v_xor_b32_e32 v3, v3, v2
	v_sub_co_u32_e32 v10, vcc, v6, v2
	v_subb_co_u32_e32 v11, vcc, v3, v2, vcc
.LBB5_7:
	s_andn2_saveexec_b64 s[0:1], s[2:3]
	s_cbranch_execz .LBB5_9
; %bb.8:
	v_cvt_f32_u32_e32 v2, s10
	s_sub_i32 s2, 0, s10
	v_mov_b32_e32 v11, 0
	v_rcp_iflag_f32_e32 v2, v2
	v_mul_f32_e32 v2, 0x4f7ffffe, v2
	v_cvt_u32_f32_e32 v2, v2
	v_mul_lo_u32 v3, s2, v2
	v_mul_hi_u32 v3, v2, v3
	v_add_u32_e32 v2, v2, v3
	v_mul_hi_u32 v2, v4, v2
	v_mul_lo_u32 v3, v2, s10
	v_add_u32_e32 v6, 1, v2
	v_sub_u32_e32 v3, v4, v3
	v_subrev_u32_e32 v7, s10, v3
	v_cmp_le_u32_e32 vcc, s10, v3
	v_cndmask_b32_e32 v3, v3, v7, vcc
	v_cndmask_b32_e32 v2, v2, v6, vcc
	v_add_u32_e32 v6, 1, v2
	v_cmp_le_u32_e32 vcc, s10, v3
	v_cndmask_b32_e32 v10, v2, v6, vcc
.LBB5_9:
	s_or_b64 exec, exec, s[0:1]
	v_or_b32_e32 v3, s15, v11
	v_mov_b32_e32 v2, 0
	v_cmp_ne_u64_e32 vcc, 0, v[2:3]
                                        ; implicit-def: $vgpr2_vgpr3
	s_and_saveexec_b64 s[0:1], vcc
	s_xor_b64 s[16:17], exec, s[0:1]
	s_cbranch_execz .LBB5_11
; %bb.10:
	s_ashr_i32 s0, s15, 31
	s_add_u32 s2, s14, s0
	s_mov_b32 s1, s0
	s_addc_u32 s3, s15, s0
	s_xor_b64 s[18:19], s[2:3], s[0:1]
	v_cvt_f32_u32_e32 v2, s18
	v_cvt_f32_u32_e32 v3, s19
	s_sub_u32 s2, 0, s18
	s_subb_u32 s3, 0, s19
	v_ashrrev_i32_e32 v8, 31, v11
	v_madmk_f32 v2, v3, 0x4f800000, v2
	v_rcp_f32_e32 v2, v2
	v_mul_f32_e32 v2, 0x5f7ffffc, v2
	v_mul_f32_e32 v3, 0x2f800000, v2
	v_trunc_f32_e32 v3, v3
	v_madmk_f32 v2, v3, 0xcf800000, v2
	v_cvt_u32_f32_e32 v3, v3
	v_cvt_u32_f32_e32 v2, v2
	v_readfirstlane_b32 s6, v3
	v_readfirstlane_b32 s0, v2
	s_mul_i32 s1, s2, s6
	s_mul_hi_u32 s20, s2, s0
	s_mul_i32 s9, s3, s0
	s_add_i32 s1, s20, s1
	s_add_i32 s1, s1, s9
	s_mul_i32 s21, s2, s0
	s_mul_i32 s20, s0, s1
	s_mul_hi_u32 s22, s0, s21
	s_mul_hi_u32 s9, s0, s1
	s_add_u32 s20, s22, s20
	s_addc_u32 s9, 0, s9
	s_mul_hi_u32 s23, s6, s21
	s_mul_i32 s21, s6, s21
	s_add_u32 s20, s20, s21
	s_mul_hi_u32 s22, s6, s1
	s_addc_u32 s9, s9, s23
	s_addc_u32 s20, s22, 0
	s_mul_i32 s1, s6, s1
	s_add_u32 s1, s9, s1
	s_addc_u32 s9, 0, s20
	s_add_u32 s20, s0, s1
	s_cselect_b64 s[0:1], -1, 0
	s_cmp_lg_u64 s[0:1], 0
	s_addc_u32 s6, s6, s9
	s_mul_i32 s0, s2, s6
	s_mul_hi_u32 s1, s2, s20
	s_add_i32 s0, s1, s0
	s_mul_i32 s3, s3, s20
	s_add_i32 s0, s0, s3
	s_mul_i32 s2, s2, s20
	s_mul_hi_u32 s3, s6, s2
	s_mul_i32 s9, s6, s2
	s_mul_i32 s22, s20, s0
	s_mul_hi_u32 s2, s20, s2
	s_mul_hi_u32 s21, s20, s0
	s_add_u32 s2, s2, s22
	s_addc_u32 s21, 0, s21
	s_add_u32 s2, s2, s9
	s_mul_hi_u32 s1, s6, s0
	s_addc_u32 s2, s21, s3
	s_addc_u32 s1, s1, 0
	s_mul_i32 s0, s6, s0
	s_add_u32 s0, s2, s0
	s_addc_u32 s2, 0, s1
	s_add_u32 s3, s20, s0
	s_cselect_b64 s[0:1], -1, 0
	s_cmp_lg_u64 s[0:1], 0
	v_add_co_u32_e32 v2, vcc, v10, v8
	s_addc_u32 s2, s6, s2
	v_xor_b32_e32 v9, v2, v8
	v_mad_u64_u32 v[2:3], s[0:1], v9, s2, 0
	v_mul_hi_u32 v7, v9, s3
	v_addc_co_u32_e32 v6, vcc, v11, v8, vcc
	v_xor_b32_e32 v12, v6, v8
	v_add_co_u32_e32 v13, vcc, v7, v2
	v_addc_co_u32_e32 v14, vcc, 0, v3, vcc
	v_mad_u64_u32 v[2:3], s[0:1], v12, s3, 0
	v_mad_u64_u32 v[6:7], s[0:1], v12, s2, 0
	v_add_co_u32_e32 v2, vcc, v13, v2
	v_addc_co_u32_e32 v2, vcc, v14, v3, vcc
	v_addc_co_u32_e32 v3, vcc, 0, v7, vcc
	v_add_co_u32_e32 v2, vcc, v2, v6
	v_addc_co_u32_e32 v3, vcc, 0, v3, vcc
	v_mul_lo_u32 v6, s19, v2
	v_mul_lo_u32 v7, s18, v3
	v_mad_u64_u32 v[2:3], s[0:1], s18, v2, 0
	v_add3_u32 v3, v3, v7, v6
	v_sub_u32_e32 v6, v12, v3
	v_mov_b32_e32 v7, s19
	v_sub_co_u32_e32 v2, vcc, v9, v2
	v_subb_co_u32_e64 v6, s[0:1], v6, v7, vcc
	v_subrev_co_u32_e64 v9, s[0:1], s18, v2
	v_subbrev_co_u32_e64 v13, s[2:3], 0, v6, s[0:1]
	v_cmp_le_u32_e64 s[2:3], s19, v13
	v_cndmask_b32_e64 v14, 0, -1, s[2:3]
	v_cmp_le_u32_e64 s[2:3], s18, v9
	v_subb_co_u32_e64 v6, s[0:1], v6, v7, s[0:1]
	v_cndmask_b32_e64 v15, 0, -1, s[2:3]
	v_cmp_eq_u32_e64 s[2:3], s19, v13
	v_subrev_co_u32_e64 v7, s[0:1], s18, v9
	v_subb_co_u32_e32 v3, vcc, v12, v3, vcc
	v_cndmask_b32_e64 v14, v14, v15, s[2:3]
	v_subbrev_co_u32_e64 v6, s[0:1], 0, v6, s[0:1]
	v_cmp_le_u32_e32 vcc, s19, v3
	v_cmp_ne_u32_e64 s[0:1], 0, v14
	v_cndmask_b32_e64 v12, 0, -1, vcc
	v_cmp_le_u32_e32 vcc, s18, v2
	v_cndmask_b32_e64 v6, v13, v6, s[0:1]
	v_cndmask_b32_e64 v13, 0, -1, vcc
	v_cmp_eq_u32_e32 vcc, s19, v3
	v_cndmask_b32_e32 v12, v12, v13, vcc
	v_cmp_ne_u32_e32 vcc, 0, v12
	v_cndmask_b32_e32 v3, v3, v6, vcc
	v_cndmask_b32_e64 v6, v9, v7, s[0:1]
	v_cndmask_b32_e32 v2, v2, v6, vcc
	v_xor_b32_e32 v2, v2, v8
	v_xor_b32_e32 v3, v3, v8
	v_sub_co_u32_e32 v2, vcc, v2, v8
	v_subb_co_u32_e32 v3, vcc, v3, v8, vcc
.LBB5_11:
	s_andn2_saveexec_b64 s[0:1], s[16:17]
	s_cbranch_execz .LBB5_13
; %bb.12:
	v_cvt_f32_u32_e32 v2, s14
	s_sub_i32 s2, 0, s14
	v_rcp_iflag_f32_e32 v2, v2
	v_mul_f32_e32 v2, 0x4f7ffffe, v2
	v_cvt_u32_f32_e32 v2, v2
	v_mul_lo_u32 v3, s2, v2
	v_mul_hi_u32 v3, v2, v3
	v_add_u32_e32 v2, v2, v3
	v_mul_hi_u32 v2, v10, v2
	v_mul_lo_u32 v2, v2, s14
	v_sub_u32_e32 v2, v10, v2
	v_subrev_u32_e32 v3, s14, v2
	v_cmp_le_u32_e32 vcc, s14, v2
	v_cndmask_b32_e32 v2, v2, v3, vcc
	v_subrev_u32_e32 v3, s14, v2
	v_cmp_le_u32_e32 vcc, s14, v2
	v_cndmask_b32_e32 v2, v2, v3, vcc
	v_mov_b32_e32 v3, 0
.LBB5_13:
	s_or_b64 exec, exec, s[0:1]
	s_load_dwordx4 s[16:19], s[4:5], 0x128
	s_load_dwordx4 s[0:3], s[4:5], 0x140
	s_load_dwordx2 s[20:21], s[4:5], 0x150
	s_load_dwordx2 s[22:23], s[4:5], 0x108
	s_load_dwordx2 s[24:25], s[4:5], 0x18
	s_waitcnt lgkmcnt(0)
	s_mul_i32 s6, s17, s8
	s_mul_hi_u32 s9, s16, s8
	s_add_i32 s17, s9, s6
	s_mul_i32 s16, s16, s8
	s_lshl_b64 s[16:17], s[16:17], 2
	s_add_u32 s6, s22, s16
	s_addc_u32 s9, s23, s17
	s_mul_i32 s16, s19, s7
	s_mul_hi_u32 s17, s18, s7
	s_add_i32 s17, s17, s16
	s_mul_i32 s16, s18, s7
	s_lshl_b64 s[16:17], s[16:17], 2
	s_add_u32 s16, s6, s16
	s_addc_u32 s17, s9, s17
	s_sub_u32 s22, s24, s0
	s_subb_u32 s23, s25, s1
	s_add_u32 s18, s12, -1
	s_addc_u32 s19, s13, -1
	v_cmp_ne_u64_e32 vcc, s[18:19], v[0:1]
	v_mov_b32_e32 v6, s22
	v_mov_b32_e32 v7, s23
	s_and_saveexec_b64 s[12:13], vcc
	s_cbranch_execz .LBB5_15
; %bb.14:
	s_xor_b32 s9, s22, s23
	s_flbit_i32 s6, s23
	s_ashr_i32 s9, s9, 31
	s_add_i32 s6, s6, -1
	s_add_i32 s9, s9, 32
	s_min_u32 s6, s6, s9
	s_lshl_b64 s[22:23], s[22:23], s6
	s_min_u32 s9, s22, 1
	s_or_b32 s9, s23, s9
	s_xor_b32 s22, s18, s19
	v_cvt_f32_i32_e32 v6, s9
	s_flbit_i32 s9, s19
	s_ashr_i32 s22, s22, 31
	s_add_i32 s9, s9, -1
	s_add_i32 s22, s22, 32
	s_min_u32 s9, s9, s22
	s_lshl_b64 s[18:19], s[18:19], s9
	s_min_u32 s18, s18, 1
	s_or_b32 s18, s19, s18
	v_cvt_f32_i32_e32 v7, s18
	s_sub_i32 s6, 32, s6
	v_ldexp_f32 v8, v6, s6
	s_sub_i32 s6, 32, s9
	v_ldexp_f32 v9, v7, s6
	v_div_scale_f32 v6, s[18:19], v9, v9, v8
	v_div_scale_f32 v7, vcc, v8, v9, v8
	v_ffbh_i32_e32 v13, v1
	s_load_dword s6, s[16:17], 0x0
	s_mov_b32 s9, 0x2f800000
	s_mov_b32 s18, 0xcf800000
	v_rcp_f32_e32 v12, v6
	v_fma_f32 v14, -v6, v12, 1.0
	v_fmac_f32_e32 v12, v14, v12
	v_mul_f32_e32 v14, v7, v12
	v_fma_f32 v15, -v6, v14, v7
	v_fmac_f32_e32 v14, v15, v12
	v_fma_f32 v6, -v6, v14, v7
	v_div_fmas_f32 v12, v6, v12, v14
	v_xor_b32_e32 v6, v0, v1
	v_ashrrev_i32_e32 v6, 31, v6
	v_add_u32_e32 v7, -1, v13
	v_add_u32_e32 v6, 32, v6
	v_min_u32_e32 v13, v7, v6
	v_lshlrev_b64 v[6:7], v13, v[0:1]
	v_min_u32_e32 v6, 1, v6
	v_or_b32_e32 v6, v7, v6
	v_cvt_f32_i32_e32 v6, v6
	v_sub_u32_e32 v7, 32, v13
	v_ldexp_f32 v6, v6, v7
	s_waitcnt lgkmcnt(0)
	v_add_f32_e32 v6, s6, v6
	v_div_fixup_f32 v7, v12, v9, v8
	v_mul_f32_e32 v6, v7, v6
	v_trunc_f32_e32 v6, v6
	v_mul_f32_e64 v8, |v6|, s9
	v_floor_f32_e32 v8, v8
	v_mul_f32_e32 v7, s6, v7
	v_fma_f32 v9, v8, s18, |v6|
	v_trunc_f32_e32 v7, v7
	v_cvt_u32_f32_e32 v9, v9
	v_mul_f32_e64 v12, |v7|, s9
	v_cvt_u32_f32_e32 v8, v8
	v_floor_f32_e32 v12, v12
	v_fma_f32 v13, v12, s18, |v7|
	v_ashrrev_i32_e32 v6, 31, v6
	v_cvt_u32_f32_e32 v13, v13
	v_xor_b32_e32 v9, v9, v6
	v_cvt_u32_f32_e32 v12, v12
	v_xor_b32_e32 v8, v8, v6
	v_sub_co_u32_e32 v9, vcc, v9, v6
	v_subb_co_u32_e32 v8, vcc, v8, v6, vcc
	v_ashrrev_i32_e32 v6, 31, v7
	v_xor_b32_e32 v7, v13, v6
	v_xor_b32_e32 v12, v12, v6
	v_sub_co_u32_e32 v7, vcc, v6, v7
	v_subb_co_u32_e32 v12, vcc, v6, v12, vcc
	v_add_co_u32_e32 v6, vcc, v9, v7
	v_addc_co_u32_e32 v7, vcc, v8, v12, vcc
.LBB5_15:
	s_or_b64 exec, exec, s[12:13]
	s_load_dwordx2 s[24:25], s[4:5], 0x20
	s_load_dwordx2 s[12:13], s[4:5], 0x138
	s_waitcnt lgkmcnt(0)
	s_sub_u32 s22, s24, s2
	s_subb_u32 s23, s25, s3
	s_add_u32 s18, s14, -1
	s_addc_u32 s19, s15, -1
	v_cmp_ne_u64_e32 vcc, s[18:19], v[2:3]
	v_mov_b32_e32 v8, s22
	v_mov_b32_e32 v9, s23
	s_and_saveexec_b64 s[14:15], vcc
	s_cbranch_execz .LBB5_17
; %bb.16:
	s_lshl_b64 s[26:27], s[12:13], 2
	s_add_u32 s26, s16, s26
	s_addc_u32 s27, s17, s27
	s_xor_b32 s9, s22, s23
	s_flbit_i32 s6, s23
	s_ashr_i32 s9, s9, 31
	s_add_i32 s6, s6, -1
	s_add_i32 s9, s9, 32
	s_min_u32 s6, s6, s9
	s_lshl_b64 s[22:23], s[22:23], s6
	s_min_u32 s9, s22, 1
	s_or_b32 s9, s23, s9
	s_xor_b32 s22, s18, s19
	v_cvt_f32_i32_e32 v8, s9
	s_flbit_i32 s9, s19
	s_ashr_i32 s22, s22, 31
	s_add_i32 s9, s9, -1
	s_add_i32 s22, s22, 32
	s_min_u32 s9, s9, s22
	s_lshl_b64 s[18:19], s[18:19], s9
	s_min_u32 s18, s18, 1
	s_or_b32 s18, s19, s18
	v_cvt_f32_i32_e32 v9, s18
	s_sub_i32 s6, 32, s6
	v_ldexp_f32 v12, v8, s6
	s_sub_i32 s6, 32, s9
	v_ldexp_f32 v13, v9, s6
	v_div_scale_f32 v8, s[18:19], v13, v13, v12
	v_div_scale_f32 v9, vcc, v12, v13, v12
	v_ffbh_i32_e32 v15, v3
	s_load_dword s6, s[26:27], 0x0
	s_mov_b32 s9, 0x2f800000
	s_mov_b32 s18, 0xcf800000
	v_rcp_f32_e32 v14, v8
	v_fma_f32 v16, -v8, v14, 1.0
	v_fmac_f32_e32 v14, v16, v14
	v_mul_f32_e32 v16, v9, v14
	v_fma_f32 v17, -v8, v16, v9
	v_fmac_f32_e32 v16, v17, v14
	v_fma_f32 v8, -v8, v16, v9
	v_div_fmas_f32 v14, v8, v14, v16
	v_xor_b32_e32 v8, v2, v3
	v_ashrrev_i32_e32 v8, 31, v8
	v_add_u32_e32 v9, -1, v15
	v_add_u32_e32 v8, 32, v8
	v_min_u32_e32 v15, v9, v8
	v_lshlrev_b64 v[8:9], v15, v[2:3]
	v_min_u32_e32 v8, 1, v8
	v_or_b32_e32 v8, v9, v8
	v_cvt_f32_i32_e32 v8, v8
	v_sub_u32_e32 v9, 32, v15
	v_ldexp_f32 v8, v8, v9
	s_waitcnt lgkmcnt(0)
	v_add_f32_e32 v8, s6, v8
	v_div_fixup_f32 v9, v14, v13, v12
	v_mul_f32_e32 v8, v9, v8
	v_trunc_f32_e32 v8, v8
	v_mul_f32_e64 v12, |v8|, s9
	v_floor_f32_e32 v12, v12
	v_mul_f32_e32 v9, s6, v9
	v_fma_f32 v13, v12, s18, |v8|
	v_trunc_f32_e32 v9, v9
	v_cvt_u32_f32_e32 v13, v13
	v_mul_f32_e64 v14, |v9|, s9
	v_cvt_u32_f32_e32 v12, v12
	v_floor_f32_e32 v14, v14
	v_fma_f32 v15, v14, s18, |v9|
	v_ashrrev_i32_e32 v8, 31, v8
	v_cvt_u32_f32_e32 v15, v15
	v_xor_b32_e32 v13, v13, v8
	v_cvt_u32_f32_e32 v14, v14
	v_xor_b32_e32 v12, v12, v8
	v_sub_co_u32_e32 v13, vcc, v13, v8
	v_subb_co_u32_e32 v12, vcc, v12, v8, vcc
	v_ashrrev_i32_e32 v8, 31, v9
	v_xor_b32_e32 v9, v15, v8
	v_xor_b32_e32 v14, v14, v8
	v_sub_co_u32_e32 v9, vcc, v8, v9
	v_subb_co_u32_e32 v14, vcc, v8, v14, vcc
	v_add_co_u32_e32 v8, vcc, v13, v9
	v_addc_co_u32_e32 v9, vcc, v12, v14, vcc
.LBB5_17:
	s_or_b64 exec, exec, s[14:15]
	s_load_dwordx2 s[22:23], s[4:5], 0x28
	v_mul_lo_u32 v12, v11, s10
	v_mul_lo_u32 v13, v10, s11
	v_mad_u64_u32 v[10:11], s[14:15], v10, s10, 0
	s_waitcnt lgkmcnt(0)
	s_sub_u32 s18, s22, s20
	s_subb_u32 s19, s23, s21
	v_add3_u32 v11, v11, v13, v12
	v_sub_co_u32_e32 v4, vcc, v4, v10
	s_add_u32 s14, s10, -1
	v_subb_co_u32_e32 v5, vcc, v5, v11, vcc
	s_addc_u32 s15, s11, -1
	v_cmp_ne_u64_e32 vcc, s[14:15], v[4:5]
	v_mov_b32_e32 v12, s18
	v_mov_b32_e32 v13, s19
	s_and_saveexec_b64 s[10:11], vcc
	s_cbranch_execz .LBB5_19
; %bb.18:
	s_lshl_b64 s[12:13], s[12:13], 3
	s_add_u32 s12, s16, s12
	s_addc_u32 s13, s17, s13
	s_xor_b32 s9, s18, s19
	s_flbit_i32 s6, s19
	s_ashr_i32 s9, s9, 31
	s_add_i32 s6, s6, -1
	s_add_i32 s9, s9, 32
	s_min_u32 s6, s6, s9
	s_lshl_b64 s[16:17], s[18:19], s6
	s_min_u32 s9, s16, 1
	s_or_b32 s9, s17, s9
	s_xor_b32 s16, s14, s15
	v_cvt_f32_i32_e32 v10, s9
	s_flbit_i32 s9, s15
	s_ashr_i32 s16, s16, 31
	s_add_i32 s9, s9, -1
	s_add_i32 s16, s16, 32
	s_min_u32 s9, s9, s16
	s_lshl_b64 s[14:15], s[14:15], s9
	s_min_u32 s14, s14, 1
	s_or_b32 s14, s15, s14
	v_cvt_f32_i32_e32 v11, s14
	s_sub_i32 s6, 32, s6
	v_ldexp_f32 v12, v10, s6
	s_sub_i32 s6, 32, s9
	v_ldexp_f32 v13, v11, s6
	v_div_scale_f32 v10, s[14:15], v13, v13, v12
	v_div_scale_f32 v11, vcc, v12, v13, v12
	s_load_dword s6, s[12:13], 0x0
	s_mov_b32 s9, 0x2f800000
	s_mov_b32 s12, 0xcf800000
	v_rcp_f32_e32 v14, v10
	v_fma_f32 v15, -v10, v14, 1.0
	v_fmac_f32_e32 v14, v15, v14
	v_mul_f32_e32 v15, v11, v14
	v_fma_f32 v16, -v10, v15, v11
	v_fmac_f32_e32 v15, v16, v14
	v_fma_f32 v10, -v10, v15, v11
	v_div_fmas_f32 v14, v10, v14, v15
	v_ffbh_u32_e32 v10, v5
	v_min_u32_e32 v15, 32, v10
	v_lshlrev_b64 v[10:11], v15, v[4:5]
	v_min_u32_e32 v10, 1, v10
	v_or_b32_e32 v10, v11, v10
	v_cvt_f32_u32_e32 v10, v10
	v_sub_u32_e32 v11, 32, v15
	v_ldexp_f32 v10, v10, v11
	s_waitcnt lgkmcnt(0)
	v_add_f32_e32 v10, s6, v10
	v_div_fixup_f32 v11, v14, v13, v12
	v_mul_f32_e32 v10, v11, v10
	v_trunc_f32_e32 v10, v10
	v_mul_f32_e32 v11, s6, v11
	v_mul_f32_e64 v12, |v10|, s9
	v_trunc_f32_e32 v11, v11
	v_floor_f32_e32 v12, v12
	v_ashrrev_i32_e32 v13, 31, v10
	v_fma_f32 v10, v12, s12, |v10|
	v_mul_f32_e64 v14, |v11|, s9
	v_cvt_u32_f32_e32 v10, v10
	v_floor_f32_e32 v14, v14
	v_cvt_u32_f32_e32 v12, v12
	v_fma_f32 v15, v14, s12, |v11|
	v_cvt_u32_f32_e32 v15, v15
	v_cvt_u32_f32_e32 v14, v14
	v_xor_b32_e32 v10, v10, v13
	v_xor_b32_e32 v12, v12, v13
	v_sub_co_u32_e32 v10, vcc, v10, v13
	v_ashrrev_i32_e32 v11, 31, v11
	v_subb_co_u32_e32 v13, vcc, v12, v13, vcc
	v_xor_b32_e32 v12, v15, v11
	v_xor_b32_e32 v14, v14, v11
	v_sub_co_u32_e32 v12, vcc, v11, v12
	v_subb_co_u32_e32 v11, vcc, v11, v14, vcc
	v_add_co_u32_e32 v12, vcc, v10, v12
	v_addc_co_u32_e32 v13, vcc, v13, v11, vcc
.LBB5_19:
	s_or_b64 exec, exec, s[10:11]
	v_mad_u64_u32 v[10:11], s[10:11], s24, v6, v[8:9]
	v_mul_lo_u32 v14, s24, v7
	v_mul_lo_u32 v15, s25, v6
	;; [unrolled: 1-line block ×3, first 2 shown]
	v_add3_u32 v11, v15, v11, v14
	v_mad_u64_u32 v[14:15], s[10:11], v10, s22, 0
	v_mul_lo_u32 v10, v11, s22
	v_cmp_lt_i64_e64 s[10:11], s[0:1], 1
	v_add3_u32 v15, v15, v16, v10
	v_add_co_u32_e32 v10, vcc, v12, v14
	v_addc_co_u32_e32 v11, vcc, v13, v15, vcc
	s_and_b64 vcc, exec, s[10:11]
	s_cbranch_vccnz .LBB5_37
; %bb.20:
	v_mov_b32_e32 v17, s1
	v_add_co_u32_e32 v16, vcc, s0, v6
	s_load_dwordx2 s[0:1], s[4:5], 0x50
	v_addc_co_u32_e32 v17, vcc, v7, v17, vcc
	s_load_dwordx8 s[12:19], s[4:5], 0x30
	v_mov_b32_e32 v19, s3
	v_add_co_u32_e32 v18, vcc, s2, v8
	v_cmp_gt_i64_e64 s[26:27], s[2:3], 0
	s_waitcnt lgkmcnt(0)
	v_mul_lo_u32 v24, v13, s0
	v_mul_lo_u32 v25, v12, s1
	v_mad_u64_u32 v[22:23], s[2:3], v12, s0, 0
	v_mul_lo_u32 v26, v9, s18
	v_mul_lo_u32 v27, v8, s19
	v_add3_u32 v23, v23, v25, v24
	v_mad_u64_u32 v[24:25], s[2:3], v8, s18, 0
	v_addc_co_u32_e32 v19, vcc, v9, v19, vcc
	v_add3_u32 v25, v25, v27, v26
	v_mov_b32_e32 v21, s21
	v_add_co_u32_e32 v20, vcc, s20, v12
	v_lshlrev_b64 v[22:23], 2, v[22:23]
	v_lshlrev_b64 v[24:25], 2, v[24:25]
	v_addc_co_u32_e32 v21, vcc, v13, v21, vcc
	s_add_u32 s2, s20, -8
	v_add_co_u32_e32 v24, vcc, v22, v24
	s_addc_u32 s3, s21, -1
	v_addc_co_u32_e32 v25, vcc, v23, v25, vcc
	v_mad_u64_u32 v[22:23], s[28:29], v6, s16, 0
	s_mul_i32 s6, s15, s7
	s_mul_hi_u32 s9, s14, s7
	v_mul_lo_u32 v26, v7, s16
	v_mul_lo_u32 v27, v6, s17
	v_cmp_gt_u64_e64 s[28:29], s[2:3], -7
	s_load_dwordx2 s[2:3], s[4:5], 0x0
	s_add_i32 s15, s9, s6
	s_mul_i32 s6, s13, s8
	s_mul_hi_u32 s9, s12, s8
	s_add_i32 s13, s9, s6
	s_mul_i32 s12, s12, s8
	s_lshl_b64 s[36:37], s[12:13], 2
	s_lshl_b64 s[12:13], s[16:17], 2
	s_lshl_b64 s[16:17], s[0:1], 2
	s_mul_i32 s0, s24, s23
	s_mul_hi_u32 s1, s24, s22
	s_mul_i32 s14, s14, s7
	s_add_i32 s0, s1, s0
	s_mul_i32 s1, s25, s22
	v_add3_u32 v23, v23, v27, v26
	s_lshl_b64 s[34:35], s[14:15], 2
	s_lshl_b64 s[14:15], s[18:19], 2
	s_add_i32 s6, s0, s1
	v_lshlrev_b64 v[22:23], 2, v[22:23]
	s_waitcnt lgkmcnt(0)
	s_add_u32 s0, s2, s36
	s_addc_u32 s1, s3, s37
	v_add_co_u32_e32 v22, vcc, v24, v22
	s_add_u32 s0, s0, s34
	v_addc_co_u32_e32 v23, vcc, v25, v23, vcc
	s_addc_u32 s1, s1, s35
	v_mov_b32_e32 v24, s1
	v_add_co_u32_e32 v22, vcc, s0, v22
	v_cmp_gt_i64_e64 s[30:31], s[20:21], 0
	v_addc_co_u32_e32 v23, vcc, v24, v23, vcc
	v_mov_b32_e32 v25, v11
	s_mov_b64 s[10:11], 0
	s_mul_i32 s9, s24, s22
	v_mov_b32_e32 v40, 0xff800000
	v_mov_b32_e32 v24, v10
	s_branch .LBB5_23
.LBB5_21:                               ;   in Loop: Header=BB5_23 Depth=1
	s_or_b64 exec, exec, s[18:19]
	v_mov_b32_e32 v24, v34
	v_mov_b32_e32 v40, v41
	;; [unrolled: 1-line block ×3, first 2 shown]
.LBB5_22:                               ;   in Loop: Header=BB5_23 Depth=1
	v_add_co_u32_e32 v6, vcc, 1, v6
	v_addc_co_u32_e32 v7, vcc, 0, v7, vcc
	v_mov_b32_e32 v26, s6
	v_add_co_u32_e32 v10, vcc, s9, v10
	v_addc_co_u32_e32 v11, vcc, v11, v26, vcc
	v_add_co_u32_e32 v14, vcc, s9, v14
	v_addc_co_u32_e32 v15, vcc, v15, v26, vcc
	v_cmp_ge_i64_e32 vcc, v[6:7], v[16:17]
	v_mov_b32_e32 v26, s13
	s_or_b64 s[10:11], vcc, s[10:11]
	v_add_co_u32_e32 v22, vcc, s12, v22
	v_addc_co_u32_e32 v23, vcc, v23, v26, vcc
	s_andn2_b64 exec, exec, s[10:11]
	s_cbranch_execz .LBB5_36
.LBB5_23:                               ; =>This Loop Header: Depth=1
                                        ;     Child Loop BB5_27 Depth 2
                                        ;       Child Loop BB5_29 Depth 3
                                        ;       Child Loop BB5_34 Depth 3
	s_andn2_b64 vcc, exec, s[26:27]
	s_cbranch_vccnz .LBB5_22
; %bb.24:                               ;   in Loop: Header=BB5_23 Depth=1
	v_mov_b32_e32 v27, v23
	v_mov_b32_e32 v29, v15
	;; [unrolled: 1-line block ×4, first 2 shown]
	s_mov_b64 s[18:19], 0
	v_mov_b32_e32 v26, v22
	v_mov_b32_e32 v28, v14
	;; [unrolled: 1-line block ×4, first 2 shown]
	s_branch .LBB5_27
.LBB5_25:                               ;   in Loop: Header=BB5_27 Depth=2
	v_mov_b32_e32 v35, v25
	v_mov_b32_e32 v34, v24
	;; [unrolled: 1-line block ×3, first 2 shown]
.LBB5_26:                               ;   in Loop: Header=BB5_27 Depth=2
	v_add_co_u32_e32 v32, vcc, 1, v32
	v_addc_co_u32_e32 v33, vcc, 0, v33, vcc
	v_mov_b32_e32 v24, s15
	v_add_co_u32_e32 v26, vcc, s14, v26
	v_addc_co_u32_e32 v27, vcc, v27, v24, vcc
	v_mov_b32_e32 v24, s23
	v_add_co_u32_e32 v30, vcc, s22, v30
	v_addc_co_u32_e32 v31, vcc, v31, v24, vcc
	v_cmp_ge_i64_e32 vcc, v[32:33], v[18:19]
	v_add_co_u32_e64 v28, s[0:1], s22, v28
	v_addc_co_u32_e64 v29, s[0:1], v29, v24, s[0:1]
	v_mov_b32_e32 v24, v34
	s_or_b64 s[18:19], vcc, s[18:19]
	v_mov_b32_e32 v40, v41
	v_mov_b32_e32 v25, v35
	s_andn2_b64 exec, exec, s[18:19]
	s_cbranch_execz .LBB5_21
.LBB5_27:                               ;   Parent Loop BB5_23 Depth=1
                                        ; =>  This Loop Header: Depth=2
                                        ;       Child Loop BB5_29 Depth 3
                                        ;       Child Loop BB5_34 Depth 3
	v_cndmask_b32_e64 v34, 0, 1, s[30:31]
	s_mov_b64 s[2:3], -1
	s_andn2_b64 vcc, exec, s[28:29]
	v_cmp_ne_u32_e64 s[0:1], 1, v34
                                        ; implicit-def: $vgpr41
                                        ; implicit-def: $vgpr34_vgpr35
	s_cbranch_vccnz .LBB5_31
; %bb.28:                               ;   in Loop: Header=BB5_27 Depth=2
	v_mov_b32_e32 v35, v25
	v_mov_b32_e32 v37, v31
	v_mov_b32_e32 v39, v27
	s_and_b64 vcc, exec, s[0:1]
	v_mov_b32_e32 v41, v40
	v_mov_b32_e32 v34, v24
	;; [unrolled: 1-line block ×4, first 2 shown]
	s_mov_b64 s[24:25], s[20:21]
	s_cbranch_vccnz .LBB5_30
.LBB5_29:                               ;   Parent Loop BB5_23 Depth=1
                                        ;     Parent Loop BB5_27 Depth=2
                                        ; =>    This Inner Loop Header: Depth=3
	global_load_dword v42, v[38:39], off
	v_mov_b32_e32 v43, s17
	v_add_co_u32_e32 v38, vcc, s16, v38
	v_addc_co_u32_e32 v39, vcc, v39, v43, vcc
	s_waitcnt vmcnt(0)
	v_cmp_gt_f32_e32 vcc, v42, v41
	v_cmp_u_f32_e64 s[2:3], v42, v42
	s_or_b64 vcc, vcc, s[2:3]
	s_add_u32 s24, s24, -1
	v_cndmask_b32_e32 v35, v35, v37, vcc
	v_cndmask_b32_e32 v34, v34, v36, vcc
	;; [unrolled: 1-line block ×3, first 2 shown]
	v_add_co_u32_e32 v36, vcc, 1, v36
	s_addc_u32 s25, s25, -1
	s_cmp_lg_u64 s[24:25], 0
	v_addc_co_u32_e32 v37, vcc, 0, v37, vcc
	s_cbranch_scc1 .LBB5_29
.LBB5_30:                               ;   in Loop: Header=BB5_27 Depth=2
	s_mov_b64 s[2:3], 0
.LBB5_31:                               ;   in Loop: Header=BB5_27 Depth=2
	s_andn2_b64 vcc, exec, s[2:3]
	s_cbranch_vccnz .LBB5_26
; %bb.32:                               ;   in Loop: Header=BB5_27 Depth=2
	s_and_b64 vcc, exec, s[0:1]
	s_cbranch_vccnz .LBB5_25
; %bb.33:                               ;   in Loop: Header=BB5_27 Depth=2
	v_mov_b32_e32 v35, v27
	v_mov_b32_e32 v37, v13
	s_mov_b64 s[24:25], 0
	v_mov_b32_e32 v34, v26
	v_mov_b32_e32 v36, v12
.LBB5_34:                               ;   Parent Loop BB5_23 Depth=1
                                        ;     Parent Loop BB5_27 Depth=2
                                        ; =>    This Inner Loop Header: Depth=3
	global_load_dword v38, v[34:35], off
	v_add_co_u32_e32 v39, vcc, v28, v36
	v_addc_co_u32_e32 v41, vcc, v29, v37, vcc
	v_add_co_u32_e32 v36, vcc, 1, v36
	v_addc_co_u32_e32 v37, vcc, 0, v37, vcc
	v_mov_b32_e32 v42, s17
	v_add_co_u32_e32 v34, vcc, s16, v34
	v_addc_co_u32_e32 v35, vcc, v35, v42, vcc
	v_cmp_ge_i64_e32 vcc, v[36:37], v[20:21]
	s_waitcnt vmcnt(0)
	v_cmp_gt_f32_e64 s[0:1], v38, v40
	v_cmp_u_f32_e64 s[2:3], v38, v38
	s_or_b64 s[0:1], s[0:1], s[2:3]
	v_cndmask_b32_e64 v25, v25, v41, s[0:1]
	v_cndmask_b32_e64 v24, v24, v39, s[0:1]
	s_or_b64 s[24:25], vcc, s[24:25]
	v_cndmask_b32_e64 v40, v40, v38, s[0:1]
	s_andn2_b64 exec, exec, s[24:25]
	s_cbranch_execnz .LBB5_34
; %bb.35:                               ;   in Loop: Header=BB5_27 Depth=2
	s_or_b64 exec, exec, s[24:25]
	s_branch .LBB5_25
.LBB5_36:
	s_or_b64 exec, exec, s[10:11]
	v_mov_b32_e32 v10, v24
	v_mov_b32_e32 v11, v25
	s_branch .LBB5_38
.LBB5_37:
	v_mov_b32_e32 v40, 0xff800000
.LBB5_38:
	s_load_dwordx8 s[20:27], s[4:5], 0xe0
	s_load_dwordx4 s[0:3], s[4:5], 0xa8
	s_load_dwordx2 s[10:11], s[4:5], 0x58
	s_load_dwordx8 s[12:19], s[4:5], 0x88
	s_load_dwordx2 s[28:29], s[4:5], 0x100
	s_waitcnt lgkmcnt(0)
	s_mul_i32 s4, s21, s8
	s_mul_hi_u32 s5, s20, s8
	s_add_i32 s5, s5, s4
	s_mul_i32 s4, s20, s8
	s_lshl_b64 s[4:5], s[4:5], 3
	s_add_u32 s6, s2, s4
	s_addc_u32 s9, s3, s5
	s_mul_i32 s2, s23, s7
	s_mul_hi_u32 s3, s22, s7
	s_add_i32 s3, s3, s2
	s_mul_i32 s2, s22, s7
	v_mul_lo_u32 v8, s25, v0
	v_mul_lo_u32 v9, s24, v1
	v_mad_u64_u32 v[6:7], s[4:5], s24, v0, 0
	s_lshl_b64 s[2:3], s[2:3], 3
	s_add_u32 s4, s6, s2
	s_addc_u32 s2, s9, s3
	v_add3_u32 v7, v7, v9, v8
	v_mov_b32_e32 v12, s2
	v_mul_lo_u32 v13, s27, v2
	v_mul_lo_u32 v14, s26, v3
	v_mad_u64_u32 v[8:9], s[2:3], s26, v2, 0
	v_lshlrev_b64 v[6:7], 3, v[6:7]
	v_add_co_u32_e32 v15, vcc, s4, v6
	v_add3_u32 v9, v9, v14, v13
	v_addc_co_u32_e32 v12, vcc, v12, v7, vcc
	v_lshlrev_b64 v[6:7], 3, v[8:9]
	v_mul_lo_u32 v13, s29, v4
	v_mul_lo_u32 v14, s28, v5
	v_mad_u64_u32 v[8:9], s[2:3], s28, v4, 0
	v_add_co_u32_e32 v15, vcc, v15, v6
	v_add3_u32 v9, v9, v14, v13
	s_mul_i32 s2, s13, s8
	s_mul_hi_u32 s3, s12, s8
	v_addc_co_u32_e32 v12, vcc, v12, v7, vcc
	v_lshlrev_b64 v[6:7], 3, v[8:9]
	s_add_i32 s3, s3, s2
	s_mul_i32 s2, s12, s8
	s_lshl_b64 s[2:3], s[2:3], 2
	v_add_co_u32_e32 v6, vcc, v15, v6
	s_add_u32 s6, s10, s2
	v_addc_co_u32_e32 v7, vcc, v12, v7, vcc
	s_addc_u32 s8, s11, s3
	s_mul_i32 s2, s15, s7
	s_mul_hi_u32 s3, s14, s7
	global_store_dwordx2 v[6:7], v[10:11], off
	s_add_i32 s3, s3, s2
	s_mul_i32 s2, s14, s7
	v_mul_lo_u32 v6, s17, v0
	v_mul_lo_u32 v7, s16, v1
	v_mad_u64_u32 v[0:1], s[4:5], s16, v0, 0
	s_lshl_b64 s[2:3], s[2:3], 2
	s_add_u32 s4, s6, s2
	s_addc_u32 s2, s8, s3
	v_add3_u32 v1, v1, v7, v6
	v_mov_b32_e32 v6, s2
	v_mul_lo_u32 v7, s19, v2
	v_mul_lo_u32 v8, s18, v3
	v_mad_u64_u32 v[2:3], s[2:3], s18, v2, 0
	v_lshlrev_b64 v[0:1], 2, v[0:1]
	v_mul_lo_u32 v5, s0, v5
	v_add_co_u32_e32 v9, vcc, s4, v0
	v_add3_u32 v3, v3, v8, v7
	v_addc_co_u32_e32 v6, vcc, v6, v1, vcc
	v_lshlrev_b64 v[0:1], 2, v[2:3]
	v_mul_lo_u32 v7, s1, v4
	v_mad_u64_u32 v[2:3], s[0:1], s0, v4, 0
	v_add_co_u32_e32 v4, vcc, v9, v0
	v_add3_u32 v3, v3, v5, v7
	v_addc_co_u32_e32 v6, vcc, v6, v1, vcc
	v_lshlrev_b64 v[0:1], 2, v[2:3]
	v_add_co_u32_e32 v0, vcc, v4, v0
	v_addc_co_u32_e32 v1, vcc, v6, v1, vcc
	global_store_dword v[0:1], v40, off
.LBB5_39:
	s_endpgm
	.section	.rodata,"a",@progbits
	.p2align	6, 0x0
	.amdhsa_kernel _ZN2at6native12_GLOBAL__N_131fractional_max_pool3d_out_frameIfEEvN5torch10headeronly6detail27GenericPackedTensorAccessorINS5_14TensorAccessorIN3c108ArrayRefIlEEKT_Lm4ENS4_16DefaultPtrTraitsElEENS_6detail16IndexBoundsCheckILm5ElEESC_Lm5ESD_lEENS6_INS7_ISA_SB_Lm4ESD_lEESH_SB_Lm5ESD_lEENS6_INS7_ISA_lLm4ESD_lEESH_lLm5ESD_lEENS6_INS7_ISA_SC_Lm2ESD_lEENSG_ILm3ElEESC_Lm3ESD_lEElll
		.amdhsa_group_segment_fixed_size 0
		.amdhsa_private_segment_fixed_size 0
		.amdhsa_kernarg_size 600
		.amdhsa_user_sgpr_count 6
		.amdhsa_user_sgpr_private_segment_buffer 1
		.amdhsa_user_sgpr_dispatch_ptr 0
		.amdhsa_user_sgpr_queue_ptr 0
		.amdhsa_user_sgpr_kernarg_segment_ptr 1
		.amdhsa_user_sgpr_dispatch_id 0
		.amdhsa_user_sgpr_flat_scratch_init 0
		.amdhsa_user_sgpr_private_segment_size 0
		.amdhsa_uses_dynamic_stack 0
		.amdhsa_system_sgpr_private_segment_wavefront_offset 0
		.amdhsa_system_sgpr_workgroup_id_x 1
		.amdhsa_system_sgpr_workgroup_id_y 1
		.amdhsa_system_sgpr_workgroup_id_z 1
		.amdhsa_system_sgpr_workgroup_info 0
		.amdhsa_system_vgpr_workitem_id 0
		.amdhsa_next_free_vgpr 44
		.amdhsa_next_free_sgpr 38
		.amdhsa_reserve_vcc 1
		.amdhsa_reserve_flat_scratch 0
		.amdhsa_float_round_mode_32 0
		.amdhsa_float_round_mode_16_64 0
		.amdhsa_float_denorm_mode_32 3
		.amdhsa_float_denorm_mode_16_64 3
		.amdhsa_dx10_clamp 1
		.amdhsa_ieee_mode 1
		.amdhsa_fp16_overflow 0
		.amdhsa_exception_fp_ieee_invalid_op 0
		.amdhsa_exception_fp_denorm_src 0
		.amdhsa_exception_fp_ieee_div_zero 0
		.amdhsa_exception_fp_ieee_overflow 0
		.amdhsa_exception_fp_ieee_underflow 0
		.amdhsa_exception_fp_ieee_inexact 0
		.amdhsa_exception_int_div_zero 0
	.end_amdhsa_kernel
	.section	.text._ZN2at6native12_GLOBAL__N_131fractional_max_pool3d_out_frameIfEEvN5torch10headeronly6detail27GenericPackedTensorAccessorINS5_14TensorAccessorIN3c108ArrayRefIlEEKT_Lm4ENS4_16DefaultPtrTraitsElEENS_6detail16IndexBoundsCheckILm5ElEESC_Lm5ESD_lEENS6_INS7_ISA_SB_Lm4ESD_lEESH_SB_Lm5ESD_lEENS6_INS7_ISA_lLm4ESD_lEESH_lLm5ESD_lEENS6_INS7_ISA_SC_Lm2ESD_lEENSG_ILm3ElEESC_Lm3ESD_lEElll,"axG",@progbits,_ZN2at6native12_GLOBAL__N_131fractional_max_pool3d_out_frameIfEEvN5torch10headeronly6detail27GenericPackedTensorAccessorINS5_14TensorAccessorIN3c108ArrayRefIlEEKT_Lm4ENS4_16DefaultPtrTraitsElEENS_6detail16IndexBoundsCheckILm5ElEESC_Lm5ESD_lEENS6_INS7_ISA_SB_Lm4ESD_lEESH_SB_Lm5ESD_lEENS6_INS7_ISA_lLm4ESD_lEESH_lLm5ESD_lEENS6_INS7_ISA_SC_Lm2ESD_lEENSG_ILm3ElEESC_Lm3ESD_lEElll,comdat
.Lfunc_end5:
	.size	_ZN2at6native12_GLOBAL__N_131fractional_max_pool3d_out_frameIfEEvN5torch10headeronly6detail27GenericPackedTensorAccessorINS5_14TensorAccessorIN3c108ArrayRefIlEEKT_Lm4ENS4_16DefaultPtrTraitsElEENS_6detail16IndexBoundsCheckILm5ElEESC_Lm5ESD_lEENS6_INS7_ISA_SB_Lm4ESD_lEESH_SB_Lm5ESD_lEENS6_INS7_ISA_lLm4ESD_lEESH_lLm5ESD_lEENS6_INS7_ISA_SC_Lm2ESD_lEENSG_ILm3ElEESC_Lm3ESD_lEElll, .Lfunc_end5-_ZN2at6native12_GLOBAL__N_131fractional_max_pool3d_out_frameIfEEvN5torch10headeronly6detail27GenericPackedTensorAccessorINS5_14TensorAccessorIN3c108ArrayRefIlEEKT_Lm4ENS4_16DefaultPtrTraitsElEENS_6detail16IndexBoundsCheckILm5ElEESC_Lm5ESD_lEENS6_INS7_ISA_SB_Lm4ESD_lEESH_SB_Lm5ESD_lEENS6_INS7_ISA_lLm4ESD_lEESH_lLm5ESD_lEENS6_INS7_ISA_SC_Lm2ESD_lEENSG_ILm3ElEESC_Lm3ESD_lEElll
                                        ; -- End function
	.set _ZN2at6native12_GLOBAL__N_131fractional_max_pool3d_out_frameIfEEvN5torch10headeronly6detail27GenericPackedTensorAccessorINS5_14TensorAccessorIN3c108ArrayRefIlEEKT_Lm4ENS4_16DefaultPtrTraitsElEENS_6detail16IndexBoundsCheckILm5ElEESC_Lm5ESD_lEENS6_INS7_ISA_SB_Lm4ESD_lEESH_SB_Lm5ESD_lEENS6_INS7_ISA_lLm4ESD_lEESH_lLm5ESD_lEENS6_INS7_ISA_SC_Lm2ESD_lEENSG_ILm3ElEESC_Lm3ESD_lEElll.num_vgpr, 44
	.set _ZN2at6native12_GLOBAL__N_131fractional_max_pool3d_out_frameIfEEvN5torch10headeronly6detail27GenericPackedTensorAccessorINS5_14TensorAccessorIN3c108ArrayRefIlEEKT_Lm4ENS4_16DefaultPtrTraitsElEENS_6detail16IndexBoundsCheckILm5ElEESC_Lm5ESD_lEENS6_INS7_ISA_SB_Lm4ESD_lEESH_SB_Lm5ESD_lEENS6_INS7_ISA_lLm4ESD_lEESH_lLm5ESD_lEENS6_INS7_ISA_SC_Lm2ESD_lEENSG_ILm3ElEESC_Lm3ESD_lEElll.num_agpr, 0
	.set _ZN2at6native12_GLOBAL__N_131fractional_max_pool3d_out_frameIfEEvN5torch10headeronly6detail27GenericPackedTensorAccessorINS5_14TensorAccessorIN3c108ArrayRefIlEEKT_Lm4ENS4_16DefaultPtrTraitsElEENS_6detail16IndexBoundsCheckILm5ElEESC_Lm5ESD_lEENS6_INS7_ISA_SB_Lm4ESD_lEESH_SB_Lm5ESD_lEENS6_INS7_ISA_lLm4ESD_lEESH_lLm5ESD_lEENS6_INS7_ISA_SC_Lm2ESD_lEENSG_ILm3ElEESC_Lm3ESD_lEElll.numbered_sgpr, 38
	.set _ZN2at6native12_GLOBAL__N_131fractional_max_pool3d_out_frameIfEEvN5torch10headeronly6detail27GenericPackedTensorAccessorINS5_14TensorAccessorIN3c108ArrayRefIlEEKT_Lm4ENS4_16DefaultPtrTraitsElEENS_6detail16IndexBoundsCheckILm5ElEESC_Lm5ESD_lEENS6_INS7_ISA_SB_Lm4ESD_lEESH_SB_Lm5ESD_lEENS6_INS7_ISA_lLm4ESD_lEESH_lLm5ESD_lEENS6_INS7_ISA_SC_Lm2ESD_lEENSG_ILm3ElEESC_Lm3ESD_lEElll.num_named_barrier, 0
	.set _ZN2at6native12_GLOBAL__N_131fractional_max_pool3d_out_frameIfEEvN5torch10headeronly6detail27GenericPackedTensorAccessorINS5_14TensorAccessorIN3c108ArrayRefIlEEKT_Lm4ENS4_16DefaultPtrTraitsElEENS_6detail16IndexBoundsCheckILm5ElEESC_Lm5ESD_lEENS6_INS7_ISA_SB_Lm4ESD_lEESH_SB_Lm5ESD_lEENS6_INS7_ISA_lLm4ESD_lEESH_lLm5ESD_lEENS6_INS7_ISA_SC_Lm2ESD_lEENSG_ILm3ElEESC_Lm3ESD_lEElll.private_seg_size, 0
	.set _ZN2at6native12_GLOBAL__N_131fractional_max_pool3d_out_frameIfEEvN5torch10headeronly6detail27GenericPackedTensorAccessorINS5_14TensorAccessorIN3c108ArrayRefIlEEKT_Lm4ENS4_16DefaultPtrTraitsElEENS_6detail16IndexBoundsCheckILm5ElEESC_Lm5ESD_lEENS6_INS7_ISA_SB_Lm4ESD_lEESH_SB_Lm5ESD_lEENS6_INS7_ISA_lLm4ESD_lEESH_lLm5ESD_lEENS6_INS7_ISA_SC_Lm2ESD_lEENSG_ILm3ElEESC_Lm3ESD_lEElll.uses_vcc, 1
	.set _ZN2at6native12_GLOBAL__N_131fractional_max_pool3d_out_frameIfEEvN5torch10headeronly6detail27GenericPackedTensorAccessorINS5_14TensorAccessorIN3c108ArrayRefIlEEKT_Lm4ENS4_16DefaultPtrTraitsElEENS_6detail16IndexBoundsCheckILm5ElEESC_Lm5ESD_lEENS6_INS7_ISA_SB_Lm4ESD_lEESH_SB_Lm5ESD_lEENS6_INS7_ISA_lLm4ESD_lEESH_lLm5ESD_lEENS6_INS7_ISA_SC_Lm2ESD_lEENSG_ILm3ElEESC_Lm3ESD_lEElll.uses_flat_scratch, 0
	.set _ZN2at6native12_GLOBAL__N_131fractional_max_pool3d_out_frameIfEEvN5torch10headeronly6detail27GenericPackedTensorAccessorINS5_14TensorAccessorIN3c108ArrayRefIlEEKT_Lm4ENS4_16DefaultPtrTraitsElEENS_6detail16IndexBoundsCheckILm5ElEESC_Lm5ESD_lEENS6_INS7_ISA_SB_Lm4ESD_lEESH_SB_Lm5ESD_lEENS6_INS7_ISA_lLm4ESD_lEESH_lLm5ESD_lEENS6_INS7_ISA_SC_Lm2ESD_lEENSG_ILm3ElEESC_Lm3ESD_lEElll.has_dyn_sized_stack, 0
	.set _ZN2at6native12_GLOBAL__N_131fractional_max_pool3d_out_frameIfEEvN5torch10headeronly6detail27GenericPackedTensorAccessorINS5_14TensorAccessorIN3c108ArrayRefIlEEKT_Lm4ENS4_16DefaultPtrTraitsElEENS_6detail16IndexBoundsCheckILm5ElEESC_Lm5ESD_lEENS6_INS7_ISA_SB_Lm4ESD_lEESH_SB_Lm5ESD_lEENS6_INS7_ISA_lLm4ESD_lEESH_lLm5ESD_lEENS6_INS7_ISA_SC_Lm2ESD_lEENSG_ILm3ElEESC_Lm3ESD_lEElll.has_recursion, 0
	.set _ZN2at6native12_GLOBAL__N_131fractional_max_pool3d_out_frameIfEEvN5torch10headeronly6detail27GenericPackedTensorAccessorINS5_14TensorAccessorIN3c108ArrayRefIlEEKT_Lm4ENS4_16DefaultPtrTraitsElEENS_6detail16IndexBoundsCheckILm5ElEESC_Lm5ESD_lEENS6_INS7_ISA_SB_Lm4ESD_lEESH_SB_Lm5ESD_lEENS6_INS7_ISA_lLm4ESD_lEESH_lLm5ESD_lEENS6_INS7_ISA_SC_Lm2ESD_lEENSG_ILm3ElEESC_Lm3ESD_lEElll.has_indirect_call, 0
	.section	.AMDGPU.csdata,"",@progbits
; Kernel info:
; codeLenInByte = 5232
; TotalNumSgprs: 42
; NumVgprs: 44
; ScratchSize: 0
; MemoryBound: 0
; FloatMode: 240
; IeeeMode: 1
; LDSByteSize: 0 bytes/workgroup (compile time only)
; SGPRBlocks: 5
; VGPRBlocks: 10
; NumSGPRsForWavesPerEU: 42
; NumVGPRsForWavesPerEU: 44
; Occupancy: 5
; WaveLimiterHint : 1
; COMPUTE_PGM_RSRC2:SCRATCH_EN: 0
; COMPUTE_PGM_RSRC2:USER_SGPR: 6
; COMPUTE_PGM_RSRC2:TRAP_HANDLER: 0
; COMPUTE_PGM_RSRC2:TGID_X_EN: 1
; COMPUTE_PGM_RSRC2:TGID_Y_EN: 1
; COMPUTE_PGM_RSRC2:TGID_Z_EN: 1
; COMPUTE_PGM_RSRC2:TIDIG_COMP_CNT: 0
	.section	.text._ZN2at6native12_GLOBAL__N_131fractional_max_pool3d_out_frameIN3c104HalfEEEvN5torch10headeronly6detail27GenericPackedTensorAccessorINS7_14TensorAccessorINS3_8ArrayRefIlEEKT_Lm4ENS6_16DefaultPtrTraitsElEENS_6detail16IndexBoundsCheckILm5ElEESD_Lm5ESE_lEENS8_INS9_ISB_SC_Lm4ESE_lEESI_SC_Lm5ESE_lEENS8_INS9_ISB_lLm4ESE_lEESI_lLm5ESE_lEENS8_INS9_ISB_SD_Lm2ESE_lEENSH_ILm3ElEESD_Lm3ESE_lEElll,"axG",@progbits,_ZN2at6native12_GLOBAL__N_131fractional_max_pool3d_out_frameIN3c104HalfEEEvN5torch10headeronly6detail27GenericPackedTensorAccessorINS7_14TensorAccessorINS3_8ArrayRefIlEEKT_Lm4ENS6_16DefaultPtrTraitsElEENS_6detail16IndexBoundsCheckILm5ElEESD_Lm5ESE_lEENS8_INS9_ISB_SC_Lm4ESE_lEESI_SC_Lm5ESE_lEENS8_INS9_ISB_lLm4ESE_lEESI_lLm5ESE_lEENS8_INS9_ISB_SD_Lm2ESE_lEENSH_ILm3ElEESD_Lm3ESE_lEElll,comdat
	.globl	_ZN2at6native12_GLOBAL__N_131fractional_max_pool3d_out_frameIN3c104HalfEEEvN5torch10headeronly6detail27GenericPackedTensorAccessorINS7_14TensorAccessorINS3_8ArrayRefIlEEKT_Lm4ENS6_16DefaultPtrTraitsElEENS_6detail16IndexBoundsCheckILm5ElEESD_Lm5ESE_lEENS8_INS9_ISB_SC_Lm4ESE_lEESI_SC_Lm5ESE_lEENS8_INS9_ISB_lLm4ESE_lEESI_lLm5ESE_lEENS8_INS9_ISB_SD_Lm2ESE_lEENSH_ILm3ElEESD_Lm3ESE_lEElll ; -- Begin function _ZN2at6native12_GLOBAL__N_131fractional_max_pool3d_out_frameIN3c104HalfEEEvN5torch10headeronly6detail27GenericPackedTensorAccessorINS7_14TensorAccessorINS3_8ArrayRefIlEEKT_Lm4ENS6_16DefaultPtrTraitsElEENS_6detail16IndexBoundsCheckILm5ElEESD_Lm5ESE_lEENS8_INS9_ISB_SC_Lm4ESE_lEESI_SC_Lm5ESE_lEENS8_INS9_ISB_lLm4ESE_lEESI_lLm5ESE_lEENS8_INS9_ISB_SD_Lm2ESE_lEENSH_ILm3ElEESD_Lm3ESE_lEElll
	.p2align	8
	.type	_ZN2at6native12_GLOBAL__N_131fractional_max_pool3d_out_frameIN3c104HalfEEEvN5torch10headeronly6detail27GenericPackedTensorAccessorINS7_14TensorAccessorINS3_8ArrayRefIlEEKT_Lm4ENS6_16DefaultPtrTraitsElEENS_6detail16IndexBoundsCheckILm5ElEESD_Lm5ESE_lEENS8_INS9_ISB_SC_Lm4ESE_lEESI_SC_Lm5ESE_lEENS8_INS9_ISB_lLm4ESE_lEESI_lLm5ESE_lEENS8_INS9_ISB_SD_Lm2ESE_lEENSH_ILm3ElEESD_Lm3ESE_lEElll,@function
_ZN2at6native12_GLOBAL__N_131fractional_max_pool3d_out_frameIN3c104HalfEEEvN5torch10headeronly6detail27GenericPackedTensorAccessorINS7_14TensorAccessorINS3_8ArrayRefIlEEKT_Lm4ENS6_16DefaultPtrTraitsElEENS_6detail16IndexBoundsCheckILm5ElEESD_Lm5ESE_lEENS8_INS9_ISB_SC_Lm4ESE_lEESI_SC_Lm5ESE_lEENS8_INS9_ISB_lLm4ESE_lEESI_lLm5ESE_lEENS8_INS9_ISB_SD_Lm2ESE_lEENSH_ILm3ElEESD_Lm3ESE_lEElll: ; @_ZN2at6native12_GLOBAL__N_131fractional_max_pool3d_out_frameIN3c104HalfEEEvN5torch10headeronly6detail27GenericPackedTensorAccessorINS7_14TensorAccessorINS3_8ArrayRefIlEEKT_Lm4ENS6_16DefaultPtrTraitsElEENS_6detail16IndexBoundsCheckILm5ElEESD_Lm5ESE_lEENS8_INS9_ISB_SC_Lm4ESE_lEESI_SC_Lm5ESE_lEENS8_INS9_ISB_lLm4ESE_lEESI_lLm5ESE_lEENS8_INS9_ISB_SD_Lm2ESE_lEENSH_ILm3ElEESD_Lm3ESE_lEElll
; %bb.0:
	s_load_dword s0, s[4:5], 0x164
	s_load_dwordx4 s[12:15], s[4:5], 0x70
	s_load_dwordx2 s[10:11], s[4:5], 0x80
	v_mov_b32_e32 v2, 0
	v_mov_b32_e32 v1, v2
	v_mov_b32_e32 v3, s6
	s_waitcnt lgkmcnt(0)
	s_and_b32 s0, s0, 0xffff
	v_mad_u64_u32 v[4:5], s[0:1], s0, v3, v[0:1]
	s_mul_i32 s0, s10, s15
	s_mul_hi_u32 s1, s10, s14
	s_add_i32 s0, s1, s0
	s_mul_i32 s1, s11, s14
	s_mul_i32 s6, s10, s14
	s_add_i32 s0, s0, s1
	s_mul_i32 s1, s6, s13
	s_mul_hi_u32 s2, s6, s12
	s_add_i32 s1, s2, s1
	s_mul_i32 s2, s0, s12
	s_add_i32 s3, s1, s2
	s_mul_i32 s2, s6, s12
	v_cmp_gt_i64_e32 vcc, s[2:3], v[4:5]
	s_and_saveexec_b64 s[2:3], vcc
	s_cbranch_execz .LBB6_39
; %bb.1:
	v_or_b32_e32 v3, s0, v5
	v_cmp_ne_u64_e32 vcc, 0, v[2:3]
	v_ashrrev_i32_e32 v2, 31, v5
                                        ; implicit-def: $vgpr0_vgpr1
	s_and_saveexec_b64 s[2:3], vcc
	s_xor_b64 s[2:3], exec, s[2:3]
	s_cbranch_execz .LBB6_3
; %bb.2:
	s_ashr_i32 s16, s0, 31
	s_add_u32 s18, s6, s16
	s_mov_b32 s17, s16
	s_addc_u32 s19, s0, s16
	s_xor_b64 s[18:19], s[18:19], s[16:17]
	v_cvt_f32_u32_e32 v0, s18
	v_cvt_f32_u32_e32 v1, s19
	s_sub_u32 s9, 0, s18
	s_subb_u32 s17, 0, s19
	v_madmk_f32 v0, v1, 0x4f800000, v0
	v_rcp_f32_e32 v0, v0
	v_mul_f32_e32 v0, 0x5f7ffffc, v0
	v_mul_f32_e32 v1, 0x2f800000, v0
	v_trunc_f32_e32 v1, v1
	v_madmk_f32 v0, v1, 0xcf800000, v0
	v_cvt_u32_f32_e32 v1, v1
	v_cvt_u32_f32_e32 v0, v0
	v_readfirstlane_b32 s20, v1
	v_readfirstlane_b32 s0, v0
	s_mul_i32 s1, s9, s20
	s_mul_hi_u32 s22, s9, s0
	s_mul_i32 s21, s17, s0
	s_add_i32 s1, s22, s1
	s_add_i32 s1, s1, s21
	s_mul_i32 s23, s9, s0
	s_mul_i32 s22, s0, s1
	s_mul_hi_u32 s24, s0, s23
	s_mul_hi_u32 s21, s0, s1
	s_add_u32 s22, s24, s22
	s_addc_u32 s21, 0, s21
	s_mul_hi_u32 s25, s20, s23
	s_mul_i32 s23, s20, s23
	s_add_u32 s22, s22, s23
	s_mul_hi_u32 s24, s20, s1
	s_addc_u32 s21, s21, s25
	s_addc_u32 s22, s24, 0
	s_mul_i32 s1, s20, s1
	s_add_u32 s1, s21, s1
	s_addc_u32 s21, 0, s22
	s_add_u32 s22, s0, s1
	s_cselect_b64 s[0:1], -1, 0
	s_cmp_lg_u64 s[0:1], 0
	s_addc_u32 s20, s20, s21
	s_mul_i32 s0, s9, s20
	s_mul_hi_u32 s1, s9, s22
	s_add_i32 s0, s1, s0
	s_mul_i32 s17, s17, s22
	s_add_i32 s0, s0, s17
	s_mul_i32 s9, s9, s22
	s_mul_hi_u32 s17, s20, s9
	s_mul_i32 s21, s20, s9
	s_mul_i32 s24, s22, s0
	s_mul_hi_u32 s9, s22, s9
	s_mul_hi_u32 s23, s22, s0
	s_add_u32 s9, s9, s24
	s_addc_u32 s23, 0, s23
	s_add_u32 s9, s9, s21
	s_mul_hi_u32 s1, s20, s0
	s_addc_u32 s9, s23, s17
	s_addc_u32 s1, s1, 0
	s_mul_i32 s0, s20, s0
	s_add_u32 s0, s9, s0
	s_addc_u32 s9, 0, s1
	s_add_u32 s17, s22, s0
	s_cselect_b64 s[0:1], -1, 0
	s_cmp_lg_u64 s[0:1], 0
	v_add_co_u32_e32 v0, vcc, v4, v2
	s_addc_u32 s9, s20, s9
	v_xor_b32_e32 v8, v0, v2
	v_mad_u64_u32 v[0:1], s[0:1], v8, s9, 0
	v_mul_hi_u32 v6, v8, s17
	v_addc_co_u32_e32 v3, vcc, v5, v2, vcc
	v_xor_b32_e32 v3, v3, v2
	v_add_co_u32_e32 v9, vcc, v6, v0
	v_addc_co_u32_e32 v10, vcc, 0, v1, vcc
	v_mad_u64_u32 v[0:1], s[0:1], v3, s17, 0
	v_mad_u64_u32 v[6:7], s[0:1], v3, s9, 0
	v_add_co_u32_e32 v0, vcc, v9, v0
	v_addc_co_u32_e32 v0, vcc, v10, v1, vcc
	v_addc_co_u32_e32 v1, vcc, 0, v7, vcc
	v_add_co_u32_e32 v6, vcc, v0, v6
	v_addc_co_u32_e32 v7, vcc, 0, v1, vcc
	v_mul_lo_u32 v9, s19, v6
	v_mul_lo_u32 v10, s18, v7
	v_mad_u64_u32 v[0:1], s[0:1], s18, v6, 0
	v_add3_u32 v1, v1, v10, v9
	v_sub_u32_e32 v9, v3, v1
	v_mov_b32_e32 v10, s19
	v_sub_co_u32_e32 v0, vcc, v8, v0
	v_subb_co_u32_e64 v8, s[0:1], v9, v10, vcc
	v_subrev_co_u32_e64 v9, s[0:1], s18, v0
	v_subbrev_co_u32_e64 v8, s[0:1], 0, v8, s[0:1]
	v_cmp_le_u32_e64 s[0:1], s19, v8
	v_cndmask_b32_e64 v10, 0, -1, s[0:1]
	v_cmp_le_u32_e64 s[0:1], s18, v9
	v_cndmask_b32_e64 v9, 0, -1, s[0:1]
	v_cmp_eq_u32_e64 s[0:1], s19, v8
	v_cndmask_b32_e64 v8, v10, v9, s[0:1]
	v_add_co_u32_e64 v9, s[0:1], 2, v6
	v_subb_co_u32_e32 v1, vcc, v3, v1, vcc
	v_addc_co_u32_e64 v10, s[0:1], 0, v7, s[0:1]
	v_cmp_le_u32_e32 vcc, s19, v1
	v_add_co_u32_e64 v11, s[0:1], 1, v6
	v_cndmask_b32_e64 v3, 0, -1, vcc
	v_cmp_le_u32_e32 vcc, s18, v0
	v_addc_co_u32_e64 v12, s[0:1], 0, v7, s[0:1]
	v_cndmask_b32_e64 v0, 0, -1, vcc
	v_cmp_eq_u32_e32 vcc, s19, v1
	v_cmp_ne_u32_e64 s[0:1], 0, v8
	v_cndmask_b32_e32 v0, v3, v0, vcc
	v_cndmask_b32_e64 v8, v12, v10, s[0:1]
	v_cmp_ne_u32_e32 vcc, 0, v0
	v_cndmask_b32_e64 v1, v11, v9, s[0:1]
	v_cndmask_b32_e32 v0, v7, v8, vcc
	v_cndmask_b32_e32 v1, v6, v1, vcc
	v_xor_b32_e32 v3, s16, v2
	v_xor_b32_e32 v6, v0, v3
	;; [unrolled: 1-line block ×3, first 2 shown]
	v_sub_co_u32_e32 v0, vcc, v0, v3
	v_subb_co_u32_e32 v1, vcc, v6, v3, vcc
.LBB6_3:
	s_andn2_saveexec_b64 s[0:1], s[2:3]
	s_cbranch_execz .LBB6_5
; %bb.4:
	v_cvt_f32_u32_e32 v0, s6
	s_sub_i32 s2, 0, s6
	v_rcp_iflag_f32_e32 v0, v0
	v_mul_f32_e32 v0, 0x4f7ffffe, v0
	v_cvt_u32_f32_e32 v0, v0
	v_mul_lo_u32 v1, s2, v0
	v_mul_hi_u32 v1, v0, v1
	v_add_u32_e32 v0, v0, v1
	v_mul_hi_u32 v0, v4, v0
	v_mul_lo_u32 v1, v0, s6
	v_add_u32_e32 v3, 1, v0
	v_sub_u32_e32 v1, v4, v1
	v_subrev_u32_e32 v6, s6, v1
	v_cmp_le_u32_e32 vcc, s6, v1
	v_cndmask_b32_e32 v1, v1, v6, vcc
	v_cndmask_b32_e32 v0, v0, v3, vcc
	v_add_u32_e32 v3, 1, v0
	v_cmp_le_u32_e32 vcc, s6, v1
	v_cndmask_b32_e32 v0, v0, v3, vcc
	v_mov_b32_e32 v1, 0
.LBB6_5:
	s_or_b64 exec, exec, s[0:1]
	v_or_b32_e32 v7, s11, v5
	v_mov_b32_e32 v6, 0
	v_cmp_ne_u64_e32 vcc, 0, v[6:7]
                                        ; implicit-def: $vgpr10_vgpr11
	s_and_saveexec_b64 s[0:1], vcc
	s_xor_b64 s[2:3], exec, s[0:1]
	s_cbranch_execz .LBB6_7
; %bb.6:
	s_ashr_i32 s16, s11, 31
	s_add_u32 s0, s10, s16
	s_mov_b32 s17, s16
	s_addc_u32 s1, s11, s16
	s_xor_b64 s[18:19], s[0:1], s[16:17]
	v_cvt_f32_u32_e32 v3, s18
	v_cvt_f32_u32_e32 v6, s19
	s_sub_u32 s6, 0, s18
	s_subb_u32 s9, 0, s19
	v_madmk_f32 v3, v6, 0x4f800000, v3
	v_rcp_f32_e32 v3, v3
	v_mul_f32_e32 v3, 0x5f7ffffc, v3
	v_mul_f32_e32 v6, 0x2f800000, v3
	v_trunc_f32_e32 v6, v6
	v_madmk_f32 v3, v6, 0xcf800000, v3
	v_cvt_u32_f32_e32 v6, v6
	v_cvt_u32_f32_e32 v3, v3
	v_readfirstlane_b32 s17, v6
	v_readfirstlane_b32 s0, v3
	s_mul_i32 s1, s6, s17
	s_mul_hi_u32 s21, s6, s0
	s_mul_i32 s20, s9, s0
	s_add_i32 s1, s21, s1
	s_add_i32 s1, s1, s20
	s_mul_i32 s22, s6, s0
	s_mul_i32 s21, s0, s1
	s_mul_hi_u32 s23, s0, s22
	s_mul_hi_u32 s20, s0, s1
	s_add_u32 s21, s23, s21
	s_addc_u32 s20, 0, s20
	s_mul_hi_u32 s24, s17, s22
	s_mul_i32 s22, s17, s22
	s_add_u32 s21, s21, s22
	s_mul_hi_u32 s23, s17, s1
	s_addc_u32 s20, s20, s24
	s_addc_u32 s21, s23, 0
	s_mul_i32 s1, s17, s1
	s_add_u32 s1, s20, s1
	s_addc_u32 s20, 0, s21
	s_add_u32 s21, s0, s1
	s_cselect_b64 s[0:1], -1, 0
	s_cmp_lg_u64 s[0:1], 0
	s_addc_u32 s17, s17, s20
	s_mul_i32 s0, s6, s17
	s_mul_hi_u32 s1, s6, s21
	s_add_i32 s0, s1, s0
	s_mul_i32 s9, s9, s21
	s_add_i32 s0, s0, s9
	s_mul_i32 s6, s6, s21
	s_mul_hi_u32 s9, s17, s6
	s_mul_i32 s20, s17, s6
	s_mul_i32 s23, s21, s0
	s_mul_hi_u32 s6, s21, s6
	s_mul_hi_u32 s22, s21, s0
	s_add_u32 s6, s6, s23
	s_addc_u32 s22, 0, s22
	s_add_u32 s6, s6, s20
	s_mul_hi_u32 s1, s17, s0
	s_addc_u32 s6, s22, s9
	s_addc_u32 s1, s1, 0
	s_mul_i32 s0, s17, s0
	s_add_u32 s0, s6, s0
	s_addc_u32 s6, 0, s1
	s_add_u32 s9, s21, s0
	s_cselect_b64 s[0:1], -1, 0
	s_cmp_lg_u64 s[0:1], 0
	v_add_co_u32_e32 v3, vcc, v4, v2
	s_addc_u32 s6, s17, s6
	v_xor_b32_e32 v3, v3, v2
	v_mad_u64_u32 v[6:7], s[0:1], v3, s6, 0
	v_mul_hi_u32 v9, v3, s9
	v_addc_co_u32_e32 v8, vcc, v5, v2, vcc
	v_xor_b32_e32 v10, v8, v2
	v_add_co_u32_e32 v11, vcc, v9, v6
	v_addc_co_u32_e32 v12, vcc, 0, v7, vcc
	v_mad_u64_u32 v[6:7], s[0:1], v10, s9, 0
	v_mad_u64_u32 v[8:9], s[0:1], v10, s6, 0
	v_add_co_u32_e32 v6, vcc, v11, v6
	v_addc_co_u32_e32 v6, vcc, v12, v7, vcc
	v_addc_co_u32_e32 v7, vcc, 0, v9, vcc
	v_add_co_u32_e32 v8, vcc, v6, v8
	v_addc_co_u32_e32 v9, vcc, 0, v7, vcc
	v_mul_lo_u32 v11, s19, v8
	v_mul_lo_u32 v12, s18, v9
	v_mad_u64_u32 v[6:7], s[0:1], s18, v8, 0
	v_xor_b32_e32 v2, s16, v2
	v_add3_u32 v7, v7, v12, v11
	v_sub_u32_e32 v11, v10, v7
	v_mov_b32_e32 v12, s19
	v_sub_co_u32_e32 v3, vcc, v3, v6
	v_subb_co_u32_e64 v6, s[0:1], v11, v12, vcc
	v_subrev_co_u32_e64 v11, s[0:1], s18, v3
	v_subbrev_co_u32_e64 v6, s[0:1], 0, v6, s[0:1]
	v_cmp_le_u32_e64 s[0:1], s19, v6
	v_cndmask_b32_e64 v12, 0, -1, s[0:1]
	v_cmp_le_u32_e64 s[0:1], s18, v11
	v_cndmask_b32_e64 v11, 0, -1, s[0:1]
	v_cmp_eq_u32_e64 s[0:1], s19, v6
	v_cndmask_b32_e64 v6, v12, v11, s[0:1]
	v_add_co_u32_e64 v11, s[0:1], 2, v8
	v_subb_co_u32_e32 v7, vcc, v10, v7, vcc
	v_addc_co_u32_e64 v12, s[0:1], 0, v9, s[0:1]
	v_cmp_le_u32_e32 vcc, s19, v7
	v_add_co_u32_e64 v13, s[0:1], 1, v8
	v_cndmask_b32_e64 v10, 0, -1, vcc
	v_cmp_le_u32_e32 vcc, s18, v3
	v_addc_co_u32_e64 v14, s[0:1], 0, v9, s[0:1]
	v_cndmask_b32_e64 v3, 0, -1, vcc
	v_cmp_eq_u32_e32 vcc, s19, v7
	v_cmp_ne_u32_e64 s[0:1], 0, v6
	v_cndmask_b32_e32 v3, v10, v3, vcc
	v_cndmask_b32_e64 v6, v14, v12, s[0:1]
	v_cmp_ne_u32_e32 vcc, 0, v3
	v_cndmask_b32_e32 v3, v9, v6, vcc
	v_cndmask_b32_e64 v6, v13, v11, s[0:1]
	v_cndmask_b32_e32 v6, v8, v6, vcc
	v_xor_b32_e32 v6, v6, v2
	v_xor_b32_e32 v3, v3, v2
	v_sub_co_u32_e32 v10, vcc, v6, v2
	v_subb_co_u32_e32 v11, vcc, v3, v2, vcc
.LBB6_7:
	s_andn2_saveexec_b64 s[0:1], s[2:3]
	s_cbranch_execz .LBB6_9
; %bb.8:
	v_cvt_f32_u32_e32 v2, s10
	s_sub_i32 s2, 0, s10
	v_mov_b32_e32 v11, 0
	v_rcp_iflag_f32_e32 v2, v2
	v_mul_f32_e32 v2, 0x4f7ffffe, v2
	v_cvt_u32_f32_e32 v2, v2
	v_mul_lo_u32 v3, s2, v2
	v_mul_hi_u32 v3, v2, v3
	v_add_u32_e32 v2, v2, v3
	v_mul_hi_u32 v2, v4, v2
	v_mul_lo_u32 v3, v2, s10
	v_add_u32_e32 v6, 1, v2
	v_sub_u32_e32 v3, v4, v3
	v_subrev_u32_e32 v7, s10, v3
	v_cmp_le_u32_e32 vcc, s10, v3
	v_cndmask_b32_e32 v3, v3, v7, vcc
	v_cndmask_b32_e32 v2, v2, v6, vcc
	v_add_u32_e32 v6, 1, v2
	v_cmp_le_u32_e32 vcc, s10, v3
	v_cndmask_b32_e32 v10, v2, v6, vcc
.LBB6_9:
	s_or_b64 exec, exec, s[0:1]
	v_or_b32_e32 v3, s15, v11
	v_mov_b32_e32 v2, 0
	v_cmp_ne_u64_e32 vcc, 0, v[2:3]
                                        ; implicit-def: $vgpr2_vgpr3
	s_and_saveexec_b64 s[0:1], vcc
	s_xor_b64 s[16:17], exec, s[0:1]
	s_cbranch_execz .LBB6_11
; %bb.10:
	s_ashr_i32 s0, s15, 31
	s_add_u32 s2, s14, s0
	s_mov_b32 s1, s0
	s_addc_u32 s3, s15, s0
	s_xor_b64 s[18:19], s[2:3], s[0:1]
	v_cvt_f32_u32_e32 v2, s18
	v_cvt_f32_u32_e32 v3, s19
	s_sub_u32 s2, 0, s18
	s_subb_u32 s3, 0, s19
	v_ashrrev_i32_e32 v8, 31, v11
	v_madmk_f32 v2, v3, 0x4f800000, v2
	v_rcp_f32_e32 v2, v2
	v_mul_f32_e32 v2, 0x5f7ffffc, v2
	v_mul_f32_e32 v3, 0x2f800000, v2
	v_trunc_f32_e32 v3, v3
	v_madmk_f32 v2, v3, 0xcf800000, v2
	v_cvt_u32_f32_e32 v3, v3
	v_cvt_u32_f32_e32 v2, v2
	v_readfirstlane_b32 s6, v3
	v_readfirstlane_b32 s0, v2
	s_mul_i32 s1, s2, s6
	s_mul_hi_u32 s20, s2, s0
	s_mul_i32 s9, s3, s0
	s_add_i32 s1, s20, s1
	s_add_i32 s1, s1, s9
	s_mul_i32 s21, s2, s0
	s_mul_i32 s20, s0, s1
	s_mul_hi_u32 s22, s0, s21
	s_mul_hi_u32 s9, s0, s1
	s_add_u32 s20, s22, s20
	s_addc_u32 s9, 0, s9
	s_mul_hi_u32 s23, s6, s21
	s_mul_i32 s21, s6, s21
	s_add_u32 s20, s20, s21
	s_mul_hi_u32 s22, s6, s1
	s_addc_u32 s9, s9, s23
	s_addc_u32 s20, s22, 0
	s_mul_i32 s1, s6, s1
	s_add_u32 s1, s9, s1
	s_addc_u32 s9, 0, s20
	s_add_u32 s20, s0, s1
	s_cselect_b64 s[0:1], -1, 0
	s_cmp_lg_u64 s[0:1], 0
	s_addc_u32 s6, s6, s9
	s_mul_i32 s0, s2, s6
	s_mul_hi_u32 s1, s2, s20
	s_add_i32 s0, s1, s0
	s_mul_i32 s3, s3, s20
	s_add_i32 s0, s0, s3
	s_mul_i32 s2, s2, s20
	s_mul_hi_u32 s3, s6, s2
	s_mul_i32 s9, s6, s2
	s_mul_i32 s22, s20, s0
	s_mul_hi_u32 s2, s20, s2
	s_mul_hi_u32 s21, s20, s0
	s_add_u32 s2, s2, s22
	s_addc_u32 s21, 0, s21
	s_add_u32 s2, s2, s9
	s_mul_hi_u32 s1, s6, s0
	s_addc_u32 s2, s21, s3
	s_addc_u32 s1, s1, 0
	s_mul_i32 s0, s6, s0
	s_add_u32 s0, s2, s0
	s_addc_u32 s2, 0, s1
	s_add_u32 s3, s20, s0
	s_cselect_b64 s[0:1], -1, 0
	s_cmp_lg_u64 s[0:1], 0
	v_add_co_u32_e32 v2, vcc, v10, v8
	s_addc_u32 s2, s6, s2
	v_xor_b32_e32 v9, v2, v8
	v_mad_u64_u32 v[2:3], s[0:1], v9, s2, 0
	v_mul_hi_u32 v7, v9, s3
	v_addc_co_u32_e32 v6, vcc, v11, v8, vcc
	v_xor_b32_e32 v12, v6, v8
	v_add_co_u32_e32 v13, vcc, v7, v2
	v_addc_co_u32_e32 v14, vcc, 0, v3, vcc
	v_mad_u64_u32 v[2:3], s[0:1], v12, s3, 0
	v_mad_u64_u32 v[6:7], s[0:1], v12, s2, 0
	v_add_co_u32_e32 v2, vcc, v13, v2
	v_addc_co_u32_e32 v2, vcc, v14, v3, vcc
	v_addc_co_u32_e32 v3, vcc, 0, v7, vcc
	v_add_co_u32_e32 v2, vcc, v2, v6
	v_addc_co_u32_e32 v3, vcc, 0, v3, vcc
	v_mul_lo_u32 v6, s19, v2
	v_mul_lo_u32 v7, s18, v3
	v_mad_u64_u32 v[2:3], s[0:1], s18, v2, 0
	v_add3_u32 v3, v3, v7, v6
	v_sub_u32_e32 v6, v12, v3
	v_mov_b32_e32 v7, s19
	v_sub_co_u32_e32 v2, vcc, v9, v2
	v_subb_co_u32_e64 v6, s[0:1], v6, v7, vcc
	v_subrev_co_u32_e64 v9, s[0:1], s18, v2
	v_subbrev_co_u32_e64 v13, s[2:3], 0, v6, s[0:1]
	v_cmp_le_u32_e64 s[2:3], s19, v13
	v_cndmask_b32_e64 v14, 0, -1, s[2:3]
	v_cmp_le_u32_e64 s[2:3], s18, v9
	v_subb_co_u32_e64 v6, s[0:1], v6, v7, s[0:1]
	v_cndmask_b32_e64 v15, 0, -1, s[2:3]
	v_cmp_eq_u32_e64 s[2:3], s19, v13
	v_subrev_co_u32_e64 v7, s[0:1], s18, v9
	v_subb_co_u32_e32 v3, vcc, v12, v3, vcc
	v_cndmask_b32_e64 v14, v14, v15, s[2:3]
	v_subbrev_co_u32_e64 v6, s[0:1], 0, v6, s[0:1]
	v_cmp_le_u32_e32 vcc, s19, v3
	v_cmp_ne_u32_e64 s[0:1], 0, v14
	v_cndmask_b32_e64 v12, 0, -1, vcc
	v_cmp_le_u32_e32 vcc, s18, v2
	v_cndmask_b32_e64 v6, v13, v6, s[0:1]
	v_cndmask_b32_e64 v13, 0, -1, vcc
	v_cmp_eq_u32_e32 vcc, s19, v3
	v_cndmask_b32_e32 v12, v12, v13, vcc
	v_cmp_ne_u32_e32 vcc, 0, v12
	v_cndmask_b32_e32 v3, v3, v6, vcc
	v_cndmask_b32_e64 v6, v9, v7, s[0:1]
	v_cndmask_b32_e32 v2, v2, v6, vcc
	v_xor_b32_e32 v2, v2, v8
	v_xor_b32_e32 v3, v3, v8
	v_sub_co_u32_e32 v2, vcc, v2, v8
	v_subb_co_u32_e32 v3, vcc, v3, v8, vcc
.LBB6_11:
	s_andn2_saveexec_b64 s[0:1], s[16:17]
	s_cbranch_execz .LBB6_13
; %bb.12:
	v_cvt_f32_u32_e32 v2, s14
	s_sub_i32 s2, 0, s14
	v_rcp_iflag_f32_e32 v2, v2
	v_mul_f32_e32 v2, 0x4f7ffffe, v2
	v_cvt_u32_f32_e32 v2, v2
	v_mul_lo_u32 v3, s2, v2
	v_mul_hi_u32 v3, v2, v3
	v_add_u32_e32 v2, v2, v3
	v_mul_hi_u32 v2, v10, v2
	v_mul_lo_u32 v2, v2, s14
	v_sub_u32_e32 v2, v10, v2
	v_subrev_u32_e32 v3, s14, v2
	v_cmp_le_u32_e32 vcc, s14, v2
	v_cndmask_b32_e32 v2, v2, v3, vcc
	v_subrev_u32_e32 v3, s14, v2
	v_cmp_le_u32_e32 vcc, s14, v2
	v_cndmask_b32_e32 v2, v2, v3, vcc
	v_mov_b32_e32 v3, 0
.LBB6_13:
	s_or_b64 exec, exec, s[0:1]
	s_load_dwordx4 s[16:19], s[4:5], 0x128
	s_load_dwordx4 s[0:3], s[4:5], 0x140
	s_load_dwordx2 s[20:21], s[4:5], 0x150
	s_load_dwordx2 s[22:23], s[4:5], 0x108
	;; [unrolled: 1-line block ×3, first 2 shown]
	s_waitcnt lgkmcnt(0)
	s_mul_i32 s6, s17, s8
	s_mul_hi_u32 s9, s16, s8
	s_add_i32 s17, s9, s6
	s_mul_i32 s16, s16, s8
	s_lshl_b64 s[16:17], s[16:17], 1
	s_add_u32 s6, s22, s16
	s_addc_u32 s9, s23, s17
	s_mul_i32 s16, s19, s7
	s_mul_hi_u32 s17, s18, s7
	s_add_i32 s17, s17, s16
	s_mul_i32 s16, s18, s7
	s_lshl_b64 s[16:17], s[16:17], 1
	s_add_u32 s16, s6, s16
	s_addc_u32 s17, s9, s17
	s_sub_u32 s18, s24, s0
	s_subb_u32 s19, s25, s1
	s_add_u32 s22, s12, -1
	s_addc_u32 s23, s13, -1
	v_cmp_ne_u64_e32 vcc, s[22:23], v[0:1]
	v_mov_b32_e32 v6, s18
	v_mov_b32_e32 v7, s19
	s_and_saveexec_b64 s[12:13], vcc
	s_cbranch_execz .LBB6_15
; %bb.14:
	v_mov_b32_e32 v6, 0
	global_load_ushort v8, v6, s[16:17]
	s_xor_b32 s9, s18, s19
	s_xor_b32 s25, s22, s23
	s_flbit_i32 s6, s19
	s_flbit_i32 s24, s23
	s_ashr_i32 s9, s9, 31
	s_ashr_i32 s25, s25, 31
	s_add_i32 s6, s6, -1
	s_add_i32 s24, s24, -1
	s_add_i32 s9, s9, 32
	s_add_i32 s25, s25, 32
	s_min_u32 s6, s6, s9
	s_min_u32 s9, s24, s25
	s_lshl_b64 s[18:19], s[18:19], s6
	s_lshl_b64 s[22:23], s[22:23], s9
	s_min_u32 s18, s18, 1
	s_min_u32 s22, s22, 1
	s_or_b32 s18, s19, s18
	s_or_b32 s19, s23, s22
	v_cvt_f32_i32_e32 v6, s18
	v_cvt_f32_i32_e32 v7, s19
	s_sub_i32 s6, 32, s6
	s_sub_i32 s9, 32, s9
	v_ldexp_f32 v9, v6, s6
	v_ldexp_f32 v12, v7, s9
	v_div_scale_f32 v6, s[18:19], v12, v12, v9
	v_div_scale_f32 v7, vcc, v9, v12, v9
	s_mov_b32 s6, 0x2f800000
	s_mov_b32 s9, 0xcf800000
	v_rcp_f32_e32 v13, v6
	v_fma_f32 v14, -v6, v13, 1.0
	v_fmac_f32_e32 v13, v14, v13
	v_mul_f32_e32 v14, v7, v13
	v_fma_f32 v15, -v6, v14, v7
	v_fmac_f32_e32 v14, v15, v13
	v_fma_f32 v6, -v6, v14, v7
	v_div_fmas_f32 v13, v6, v13, v14
	v_xor_b32_e32 v7, v0, v1
	v_ffbh_i32_e32 v6, v1
	v_ashrrev_i32_e32 v7, 31, v7
	v_add_u32_e32 v6, -1, v6
	v_add_u32_e32 v7, 32, v7
	v_min_u32_e32 v14, v6, v7
	v_lshlrev_b64 v[6:7], v14, v[0:1]
	v_min_u32_e32 v6, 1, v6
	v_or_b32_e32 v6, v7, v6
	v_cvt_f32_i32_e32 v6, v6
	s_waitcnt vmcnt(0)
	v_cvt_f32_f16_e32 v7, v8
	v_sub_u32_e32 v8, 32, v14
	v_ldexp_f32 v6, v6, v8
	v_div_fixup_f32 v8, v13, v12, v9
	v_add_f32_e32 v6, v6, v7
	v_mul_f32_e32 v7, v8, v7
	v_trunc_f32_e32 v7, v7
	v_mul_f32_e32 v6, v8, v6
	v_mul_f32_e64 v8, |v7|, s6
	v_trunc_f32_e32 v6, v6
	v_floor_f32_e32 v8, v8
	v_ashrrev_i32_e32 v9, 31, v7
	v_mul_f32_e64 v12, |v6|, s6
	v_fma_f32 v7, v8, s9, |v7|
	v_floor_f32_e32 v12, v12
	v_cvt_u32_f32_e32 v7, v7
	v_ashrrev_i32_e32 v13, 31, v6
	v_cvt_u32_f32_e32 v8, v8
	v_fma_f32 v6, v12, s9, |v6|
	v_cvt_u32_f32_e32 v6, v6
	v_cvt_u32_f32_e32 v12, v12
	v_xor_b32_e32 v7, v7, v9
	v_xor_b32_e32 v8, v8, v9
	v_sub_co_u32_e32 v7, vcc, v9, v7
	v_xor_b32_e32 v6, v6, v13
	v_subb_co_u32_e32 v8, vcc, v9, v8, vcc
	v_xor_b32_e32 v12, v12, v13
	v_sub_co_u32_e32 v6, vcc, v6, v13
	v_subb_co_u32_e32 v9, vcc, v12, v13, vcc
	v_add_co_u32_e32 v6, vcc, v6, v7
	v_addc_co_u32_e32 v7, vcc, v9, v8, vcc
.LBB6_15:
	s_or_b64 exec, exec, s[12:13]
	s_load_dwordx2 s[24:25], s[4:5], 0x20
	s_load_dwordx2 s[12:13], s[4:5], 0x138
	s_waitcnt lgkmcnt(0)
	s_sub_u32 s18, s24, s2
	s_subb_u32 s19, s25, s3
	s_add_u32 s22, s14, -1
	s_addc_u32 s23, s15, -1
	v_cmp_ne_u64_e32 vcc, s[22:23], v[2:3]
	v_mov_b32_e32 v8, s18
	v_mov_b32_e32 v9, s19
	s_and_saveexec_b64 s[14:15], vcc
	s_cbranch_execz .LBB6_17
; %bb.16:
	s_lshl_b64 s[26:27], s[12:13], 1
	s_add_u32 s26, s16, s26
	s_addc_u32 s27, s17, s27
	v_mov_b32_e32 v8, 0
	global_load_ushort v12, v8, s[26:27]
	s_xor_b32 s26, s18, s19
	s_xor_b32 s27, s22, s23
	s_flbit_i32 s6, s19
	s_flbit_i32 s9, s23
	s_ashr_i32 s26, s26, 31
	s_ashr_i32 s27, s27, 31
	s_add_i32 s6, s6, -1
	s_add_i32 s9, s9, -1
	s_add_i32 s26, s26, 32
	s_add_i32 s27, s27, 32
	s_min_u32 s6, s6, s26
	s_min_u32 s9, s9, s27
	s_lshl_b64 s[18:19], s[18:19], s6
	s_lshl_b64 s[22:23], s[22:23], s9
	s_min_u32 s18, s18, 1
	s_min_u32 s22, s22, 1
	s_or_b32 s18, s19, s18
	s_or_b32 s19, s23, s22
	v_cvt_f32_i32_e32 v8, s18
	v_cvt_f32_i32_e32 v9, s19
	s_sub_i32 s6, 32, s6
	s_sub_i32 s9, 32, s9
	v_ldexp_f32 v13, v8, s6
	v_ldexp_f32 v14, v9, s9
	v_div_scale_f32 v8, s[18:19], v14, v14, v13
	v_div_scale_f32 v9, vcc, v13, v14, v13
	s_mov_b32 s6, 0x2f800000
	s_mov_b32 s9, 0xcf800000
	v_rcp_f32_e32 v15, v8
	v_fma_f32 v16, -v8, v15, 1.0
	v_fmac_f32_e32 v15, v16, v15
	v_mul_f32_e32 v16, v9, v15
	v_fma_f32 v17, -v8, v16, v9
	v_fmac_f32_e32 v16, v17, v15
	v_fma_f32 v8, -v8, v16, v9
	v_div_fmas_f32 v15, v8, v15, v16
	v_xor_b32_e32 v9, v2, v3
	v_ffbh_i32_e32 v8, v3
	v_ashrrev_i32_e32 v9, 31, v9
	v_add_u32_e32 v8, -1, v8
	v_add_u32_e32 v9, 32, v9
	v_min_u32_e32 v16, v8, v9
	v_lshlrev_b64 v[8:9], v16, v[2:3]
	v_min_u32_e32 v8, 1, v8
	v_or_b32_e32 v8, v9, v8
	v_cvt_f32_i32_e32 v8, v8
	s_waitcnt vmcnt(0)
	v_cvt_f32_f16_e32 v9, v12
	v_sub_u32_e32 v12, 32, v16
	v_ldexp_f32 v8, v8, v12
	v_div_fixup_f32 v12, v15, v14, v13
	v_add_f32_e32 v8, v8, v9
	v_mul_f32_e32 v9, v12, v9
	v_trunc_f32_e32 v9, v9
	v_mul_f32_e32 v8, v12, v8
	v_mul_f32_e64 v12, |v9|, s6
	v_trunc_f32_e32 v8, v8
	v_floor_f32_e32 v12, v12
	v_ashrrev_i32_e32 v13, 31, v9
	v_mul_f32_e64 v14, |v8|, s6
	v_fma_f32 v9, v12, s9, |v9|
	v_floor_f32_e32 v14, v14
	v_cvt_u32_f32_e32 v9, v9
	v_ashrrev_i32_e32 v15, 31, v8
	v_cvt_u32_f32_e32 v12, v12
	v_fma_f32 v8, v14, s9, |v8|
	v_cvt_u32_f32_e32 v8, v8
	v_cvt_u32_f32_e32 v14, v14
	v_xor_b32_e32 v9, v9, v13
	v_xor_b32_e32 v12, v12, v13
	v_sub_co_u32_e32 v9, vcc, v13, v9
	v_xor_b32_e32 v8, v8, v15
	v_subb_co_u32_e32 v12, vcc, v13, v12, vcc
	v_xor_b32_e32 v14, v14, v15
	v_sub_co_u32_e32 v8, vcc, v8, v15
	v_subb_co_u32_e32 v13, vcc, v14, v15, vcc
	v_add_co_u32_e32 v8, vcc, v8, v9
	v_addc_co_u32_e32 v9, vcc, v13, v12, vcc
.LBB6_17:
	s_or_b64 exec, exec, s[14:15]
	s_load_dwordx2 s[22:23], s[4:5], 0x28
	v_mul_lo_u32 v12, v11, s10
	v_mul_lo_u32 v13, v10, s11
	v_mad_u64_u32 v[10:11], s[14:15], v10, s10, 0
	s_waitcnt lgkmcnt(0)
	s_sub_u32 s14, s22, s20
	s_subb_u32 s15, s23, s21
	v_add3_u32 v11, v11, v13, v12
	v_sub_co_u32_e32 v4, vcc, v4, v10
	s_add_u32 s18, s10, -1
	v_subb_co_u32_e32 v5, vcc, v5, v11, vcc
	s_addc_u32 s19, s11, -1
	v_cmp_ne_u64_e32 vcc, s[18:19], v[4:5]
	v_mov_b32_e32 v12, s14
	v_mov_b32_e32 v13, s15
	s_and_saveexec_b64 s[10:11], vcc
	s_cbranch_execz .LBB6_19
; %bb.18:
	s_lshl_b64 s[12:13], s[12:13], 2
	s_add_u32 s12, s16, s12
	s_addc_u32 s13, s17, s13
	v_mov_b32_e32 v10, 0
	global_load_ushort v12, v10, s[12:13]
	s_xor_b32 s12, s14, s15
	s_xor_b32 s13, s18, s19
	s_flbit_i32 s6, s15
	s_flbit_i32 s9, s19
	s_ashr_i32 s12, s12, 31
	s_ashr_i32 s13, s13, 31
	s_add_i32 s6, s6, -1
	s_add_i32 s9, s9, -1
	s_add_i32 s12, s12, 32
	s_add_i32 s13, s13, 32
	s_min_u32 s6, s6, s12
	s_min_u32 s9, s9, s13
	s_lshl_b64 s[12:13], s[14:15], s6
	s_lshl_b64 s[14:15], s[18:19], s9
	s_min_u32 s12, s12, 1
	s_min_u32 s14, s14, 1
	s_or_b32 s12, s13, s12
	s_or_b32 s13, s15, s14
	v_cvt_f32_i32_e32 v10, s12
	v_cvt_f32_i32_e32 v11, s13
	s_sub_i32 s6, 32, s6
	s_sub_i32 s9, 32, s9
	v_ldexp_f32 v13, v10, s6
	v_ldexp_f32 v14, v11, s9
	v_div_scale_f32 v10, s[12:13], v14, v14, v13
	v_div_scale_f32 v11, vcc, v13, v14, v13
	s_mov_b32 s6, 0x2f800000
	s_mov_b32 s9, 0xcf800000
	v_rcp_f32_e32 v15, v10
	v_fma_f32 v16, -v10, v15, 1.0
	v_fmac_f32_e32 v15, v16, v15
	v_mul_f32_e32 v16, v11, v15
	v_fma_f32 v17, -v10, v16, v11
	v_fmac_f32_e32 v16, v17, v15
	v_fma_f32 v10, -v10, v16, v11
	v_div_fmas_f32 v15, v10, v15, v16
	v_ffbh_u32_e32 v10, v5
	v_min_u32_e32 v16, 32, v10
	v_lshlrev_b64 v[10:11], v16, v[4:5]
	v_min_u32_e32 v10, 1, v10
	v_or_b32_e32 v10, v11, v10
	v_cvt_f32_u32_e32 v10, v10
	s_waitcnt vmcnt(0)
	v_cvt_f32_f16_e32 v11, v12
	v_sub_u32_e32 v12, 32, v16
	v_ldexp_f32 v10, v10, v12
	v_div_fixup_f32 v12, v15, v14, v13
	v_add_f32_e32 v10, v10, v11
	v_mul_f32_e32 v11, v12, v11
	v_trunc_f32_e32 v11, v11
	v_mul_f32_e32 v10, v12, v10
	v_mul_f32_e64 v12, |v11|, s6
	v_trunc_f32_e32 v10, v10
	v_floor_f32_e32 v12, v12
	v_ashrrev_i32_e32 v13, 31, v11
	v_mul_f32_e64 v14, |v10|, s6
	v_fma_f32 v11, v12, s9, |v11|
	v_floor_f32_e32 v14, v14
	v_cvt_u32_f32_e32 v11, v11
	v_ashrrev_i32_e32 v15, 31, v10
	v_cvt_u32_f32_e32 v12, v12
	v_fma_f32 v10, v14, s9, |v10|
	v_cvt_u32_f32_e32 v10, v10
	v_cvt_u32_f32_e32 v14, v14
	v_xor_b32_e32 v11, v11, v13
	v_xor_b32_e32 v12, v12, v13
	v_sub_co_u32_e32 v11, vcc, v13, v11
	v_xor_b32_e32 v10, v10, v15
	v_subb_co_u32_e32 v13, vcc, v13, v12, vcc
	v_xor_b32_e32 v14, v14, v15
	v_sub_co_u32_e32 v10, vcc, v10, v15
	v_subb_co_u32_e32 v14, vcc, v14, v15, vcc
	v_add_co_u32_e32 v12, vcc, v10, v11
	v_addc_co_u32_e32 v13, vcc, v14, v13, vcc
.LBB6_19:
	s_or_b64 exec, exec, s[10:11]
	v_mad_u64_u32 v[10:11], s[10:11], s24, v6, v[8:9]
	v_mul_lo_u32 v14, s24, v7
	v_mul_lo_u32 v15, s25, v6
	;; [unrolled: 1-line block ×3, first 2 shown]
	v_add3_u32 v11, v15, v11, v14
	v_mad_u64_u32 v[14:15], s[10:11], v10, s22, 0
	v_mul_lo_u32 v10, v11, s22
	v_cmp_lt_i64_e64 s[10:11], s[0:1], 1
	v_add3_u32 v15, v15, v16, v10
	v_add_co_u32_e32 v10, vcc, v12, v14
	v_addc_co_u32_e32 v11, vcc, v13, v15, vcc
	s_and_b64 vcc, exec, s[10:11]
	s_cbranch_vccnz .LBB6_37
; %bb.20:
	v_mov_b32_e32 v17, s1
	v_add_co_u32_e32 v16, vcc, s0, v6
	s_load_dwordx2 s[0:1], s[4:5], 0x50
	v_addc_co_u32_e32 v17, vcc, v7, v17, vcc
	s_load_dwordx8 s[12:19], s[4:5], 0x30
	v_mov_b32_e32 v19, s3
	v_add_co_u32_e32 v18, vcc, s2, v8
	v_cmp_gt_i64_e64 s[26:27], s[2:3], 0
	s_waitcnt lgkmcnt(0)
	v_mul_lo_u32 v24, v13, s0
	v_mul_lo_u32 v25, v12, s1
	v_mad_u64_u32 v[22:23], s[2:3], v12, s0, 0
	v_mul_lo_u32 v26, v9, s18
	v_mul_lo_u32 v27, v8, s19
	v_add3_u32 v23, v23, v25, v24
	v_mad_u64_u32 v[24:25], s[2:3], v8, s18, 0
	v_addc_co_u32_e32 v19, vcc, v9, v19, vcc
	v_add3_u32 v25, v25, v27, v26
	v_mov_b32_e32 v21, s21
	v_add_co_u32_e32 v20, vcc, s20, v12
	v_lshlrev_b64 v[22:23], 1, v[22:23]
	v_lshlrev_b64 v[24:25], 1, v[24:25]
	v_addc_co_u32_e32 v21, vcc, v13, v21, vcc
	s_add_u32 s2, s20, -8
	v_add_co_u32_e32 v24, vcc, v22, v24
	s_addc_u32 s3, s21, -1
	v_addc_co_u32_e32 v25, vcc, v23, v25, vcc
	v_mad_u64_u32 v[22:23], s[28:29], v6, s16, 0
	s_mul_i32 s6, s15, s7
	s_mul_hi_u32 s9, s14, s7
	v_mul_lo_u32 v26, v7, s16
	v_mul_lo_u32 v27, v6, s17
	v_cmp_gt_u64_e64 s[28:29], s[2:3], -7
	s_load_dwordx2 s[2:3], s[4:5], 0x0
	s_add_i32 s15, s9, s6
	s_mul_i32 s6, s13, s8
	s_mul_hi_u32 s9, s12, s8
	s_add_i32 s13, s9, s6
	s_mul_i32 s12, s12, s8
	s_lshl_b64 s[36:37], s[12:13], 1
	s_lshl_b64 s[12:13], s[16:17], 1
	s_lshl_b64 s[16:17], s[0:1], 1
	s_mul_i32 s0, s24, s23
	s_mul_hi_u32 s1, s24, s22
	s_mul_i32 s14, s14, s7
	s_add_i32 s0, s1, s0
	s_mul_i32 s1, s25, s22
	v_add3_u32 v23, v23, v27, v26
	s_lshl_b64 s[34:35], s[14:15], 1
	s_lshl_b64 s[14:15], s[18:19], 1
	s_add_i32 s6, s0, s1
	v_lshlrev_b64 v[22:23], 1, v[22:23]
	s_waitcnt lgkmcnt(0)
	s_add_u32 s0, s2, s36
	s_addc_u32 s1, s3, s37
	v_add_co_u32_e32 v22, vcc, v24, v22
	s_add_u32 s0, s0, s34
	v_addc_co_u32_e32 v23, vcc, v25, v23, vcc
	s_addc_u32 s1, s1, s35
	v_mov_b32_e32 v24, s1
	v_add_co_u32_e32 v22, vcc, s0, v22
	v_cmp_gt_i64_e64 s[30:31], s[20:21], 0
	v_addc_co_u32_e32 v23, vcc, v24, v23, vcc
	v_mov_b32_e32 v25, v11
	s_mov_b64 s[10:11], 0
	s_mul_i32 s9, s24, s22
	v_mov_b32_e32 v40, 0xfffffc00
	v_mov_b32_e32 v24, v10
	s_branch .LBB6_23
.LBB6_21:                               ;   in Loop: Header=BB6_23 Depth=1
	s_or_b64 exec, exec, s[18:19]
	v_mov_b32_e32 v24, v34
	v_mov_b32_e32 v25, v35
	v_mov_b32_e32 v40, v41
.LBB6_22:                               ;   in Loop: Header=BB6_23 Depth=1
	v_add_co_u32_e32 v6, vcc, 1, v6
	v_addc_co_u32_e32 v7, vcc, 0, v7, vcc
	v_mov_b32_e32 v26, s6
	v_add_co_u32_e32 v10, vcc, s9, v10
	v_addc_co_u32_e32 v11, vcc, v11, v26, vcc
	v_add_co_u32_e32 v14, vcc, s9, v14
	v_addc_co_u32_e32 v15, vcc, v15, v26, vcc
	v_cmp_ge_i64_e32 vcc, v[6:7], v[16:17]
	v_mov_b32_e32 v26, s13
	s_or_b64 s[10:11], vcc, s[10:11]
	v_add_co_u32_e32 v22, vcc, s12, v22
	v_addc_co_u32_e32 v23, vcc, v23, v26, vcc
	s_andn2_b64 exec, exec, s[10:11]
	s_cbranch_execz .LBB6_36
.LBB6_23:                               ; =>This Loop Header: Depth=1
                                        ;     Child Loop BB6_27 Depth 2
                                        ;       Child Loop BB6_29 Depth 3
                                        ;       Child Loop BB6_34 Depth 3
	s_andn2_b64 vcc, exec, s[26:27]
	s_cbranch_vccnz .LBB6_22
; %bb.24:                               ;   in Loop: Header=BB6_23 Depth=1
	v_mov_b32_e32 v27, v23
	v_mov_b32_e32 v29, v15
	;; [unrolled: 1-line block ×4, first 2 shown]
	s_mov_b64 s[18:19], 0
	v_mov_b32_e32 v26, v22
	v_mov_b32_e32 v28, v14
	;; [unrolled: 1-line block ×4, first 2 shown]
	s_branch .LBB6_27
.LBB6_25:                               ;   in Loop: Header=BB6_27 Depth=2
	v_mov_b32_e32 v35, v25
	v_mov_b32_e32 v41, v40
	;; [unrolled: 1-line block ×3, first 2 shown]
.LBB6_26:                               ;   in Loop: Header=BB6_27 Depth=2
	v_add_co_u32_e32 v32, vcc, 1, v32
	v_addc_co_u32_e32 v33, vcc, 0, v33, vcc
	v_mov_b32_e32 v24, s15
	v_add_co_u32_e32 v26, vcc, s14, v26
	v_addc_co_u32_e32 v27, vcc, v27, v24, vcc
	v_mov_b32_e32 v24, s23
	v_add_co_u32_e32 v30, vcc, s22, v30
	v_addc_co_u32_e32 v31, vcc, v31, v24, vcc
	v_cmp_ge_i64_e32 vcc, v[32:33], v[18:19]
	v_add_co_u32_e64 v28, s[0:1], s22, v28
	v_addc_co_u32_e64 v29, s[0:1], v29, v24, s[0:1]
	v_mov_b32_e32 v24, v34
	s_or_b64 s[18:19], vcc, s[18:19]
	v_mov_b32_e32 v25, v35
	v_mov_b32_e32 v40, v41
	s_andn2_b64 exec, exec, s[18:19]
	s_cbranch_execz .LBB6_21
.LBB6_27:                               ;   Parent Loop BB6_23 Depth=1
                                        ; =>  This Loop Header: Depth=2
                                        ;       Child Loop BB6_29 Depth 3
                                        ;       Child Loop BB6_34 Depth 3
	v_cndmask_b32_e64 v34, 0, 1, s[30:31]
	s_mov_b64 s[2:3], -1
	s_andn2_b64 vcc, exec, s[28:29]
	v_cmp_ne_u32_e64 s[0:1], 1, v34
                                        ; implicit-def: $vgpr34_vgpr35
                                        ; implicit-def: $vgpr41
	s_cbranch_vccnz .LBB6_31
; %bb.28:                               ;   in Loop: Header=BB6_27 Depth=2
	v_mov_b32_e32 v35, v25
	v_mov_b32_e32 v37, v31
	;; [unrolled: 1-line block ×3, first 2 shown]
	s_and_b64 vcc, exec, s[0:1]
	v_mov_b32_e32 v34, v24
	v_mov_b32_e32 v41, v40
	;; [unrolled: 1-line block ×4, first 2 shown]
	s_mov_b64 s[24:25], s[20:21]
	s_cbranch_vccnz .LBB6_30
.LBB6_29:                               ;   Parent Loop BB6_23 Depth=1
                                        ;     Parent Loop BB6_27 Depth=2
                                        ; =>    This Inner Loop Header: Depth=3
	global_load_ushort v42, v[38:39], off
	v_mov_b32_e32 v43, s17
	v_add_co_u32_e32 v38, vcc, s16, v38
	v_addc_co_u32_e32 v39, vcc, v39, v43, vcc
	s_waitcnt vmcnt(0)
	v_cmp_gt_f16_e32 vcc, v42, v41
	v_cmp_u_f16_e64 s[2:3], v42, v42
	s_or_b64 vcc, vcc, s[2:3]
	s_add_u32 s24, s24, -1
	v_cndmask_b32_e32 v41, v41, v42, vcc
	v_cndmask_b32_e32 v35, v35, v37, vcc
	;; [unrolled: 1-line block ×3, first 2 shown]
	v_add_co_u32_e32 v36, vcc, 1, v36
	s_addc_u32 s25, s25, -1
	s_cmp_lg_u64 s[24:25], 0
	v_addc_co_u32_e32 v37, vcc, 0, v37, vcc
	s_cbranch_scc1 .LBB6_29
.LBB6_30:                               ;   in Loop: Header=BB6_27 Depth=2
	s_mov_b64 s[2:3], 0
.LBB6_31:                               ;   in Loop: Header=BB6_27 Depth=2
	s_andn2_b64 vcc, exec, s[2:3]
	s_cbranch_vccnz .LBB6_26
; %bb.32:                               ;   in Loop: Header=BB6_27 Depth=2
	s_and_b64 vcc, exec, s[0:1]
	s_cbranch_vccnz .LBB6_25
; %bb.33:                               ;   in Loop: Header=BB6_27 Depth=2
	v_mov_b32_e32 v35, v27
	v_mov_b32_e32 v37, v13
	s_mov_b64 s[24:25], 0
	v_mov_b32_e32 v34, v26
	v_mov_b32_e32 v36, v12
.LBB6_34:                               ;   Parent Loop BB6_23 Depth=1
                                        ;     Parent Loop BB6_27 Depth=2
                                        ; =>    This Inner Loop Header: Depth=3
	global_load_ushort v38, v[34:35], off
	v_add_co_u32_e32 v39, vcc, v28, v36
	v_addc_co_u32_e32 v41, vcc, v29, v37, vcc
	v_add_co_u32_e32 v36, vcc, 1, v36
	v_addc_co_u32_e32 v37, vcc, 0, v37, vcc
	v_mov_b32_e32 v42, s17
	v_add_co_u32_e32 v34, vcc, s16, v34
	v_addc_co_u32_e32 v35, vcc, v35, v42, vcc
	v_cmp_ge_i64_e32 vcc, v[36:37], v[20:21]
	s_waitcnt vmcnt(0)
	v_cmp_gt_f16_e64 s[0:1], v38, v40
	v_cmp_u_f16_e64 s[2:3], v38, v38
	s_or_b64 s[0:1], s[0:1], s[2:3]
	v_cndmask_b32_e64 v40, v40, v38, s[0:1]
	v_cndmask_b32_e64 v25, v25, v41, s[0:1]
	s_or_b64 s[24:25], vcc, s[24:25]
	v_cndmask_b32_e64 v24, v24, v39, s[0:1]
	s_andn2_b64 exec, exec, s[24:25]
	s_cbranch_execnz .LBB6_34
; %bb.35:                               ;   in Loop: Header=BB6_27 Depth=2
	s_or_b64 exec, exec, s[24:25]
	s_branch .LBB6_25
.LBB6_36:
	s_or_b64 exec, exec, s[10:11]
	v_mov_b32_e32 v10, v24
	v_mov_b32_e32 v11, v25
	s_branch .LBB6_38
.LBB6_37:
	v_mov_b32_e32 v40, 0xfffffc00
.LBB6_38:
	s_load_dwordx8 s[20:27], s[4:5], 0xe0
	s_load_dwordx4 s[0:3], s[4:5], 0xa8
	s_load_dwordx2 s[10:11], s[4:5], 0x58
	s_load_dwordx8 s[12:19], s[4:5], 0x88
	s_load_dwordx2 s[28:29], s[4:5], 0x100
	s_waitcnt lgkmcnt(0)
	s_mul_i32 s4, s21, s8
	s_mul_hi_u32 s5, s20, s8
	s_add_i32 s5, s5, s4
	s_mul_i32 s4, s20, s8
	s_lshl_b64 s[4:5], s[4:5], 3
	s_add_u32 s6, s2, s4
	s_addc_u32 s9, s3, s5
	s_mul_i32 s2, s23, s7
	s_mul_hi_u32 s3, s22, s7
	s_add_i32 s3, s3, s2
	s_mul_i32 s2, s22, s7
	v_mul_lo_u32 v8, s25, v0
	v_mul_lo_u32 v9, s24, v1
	v_mad_u64_u32 v[6:7], s[4:5], s24, v0, 0
	s_lshl_b64 s[2:3], s[2:3], 3
	s_add_u32 s4, s6, s2
	s_addc_u32 s2, s9, s3
	v_add3_u32 v7, v7, v9, v8
	v_mov_b32_e32 v12, s2
	v_mul_lo_u32 v13, s27, v2
	v_mul_lo_u32 v14, s26, v3
	v_mad_u64_u32 v[8:9], s[2:3], s26, v2, 0
	v_lshlrev_b64 v[6:7], 3, v[6:7]
	v_add_co_u32_e32 v15, vcc, s4, v6
	v_add3_u32 v9, v9, v14, v13
	v_addc_co_u32_e32 v12, vcc, v12, v7, vcc
	v_lshlrev_b64 v[6:7], 3, v[8:9]
	v_mul_lo_u32 v13, s29, v4
	v_mul_lo_u32 v14, s28, v5
	v_mad_u64_u32 v[8:9], s[2:3], s28, v4, 0
	v_add_co_u32_e32 v15, vcc, v15, v6
	v_add3_u32 v9, v9, v14, v13
	s_mul_i32 s2, s13, s8
	s_mul_hi_u32 s3, s12, s8
	v_addc_co_u32_e32 v12, vcc, v12, v7, vcc
	v_lshlrev_b64 v[6:7], 3, v[8:9]
	s_add_i32 s3, s3, s2
	s_mul_i32 s2, s12, s8
	s_lshl_b64 s[2:3], s[2:3], 1
	v_add_co_u32_e32 v6, vcc, v15, v6
	s_add_u32 s6, s10, s2
	v_addc_co_u32_e32 v7, vcc, v12, v7, vcc
	s_addc_u32 s8, s11, s3
	s_mul_i32 s2, s15, s7
	s_mul_hi_u32 s3, s14, s7
	global_store_dwordx2 v[6:7], v[10:11], off
	s_add_i32 s3, s3, s2
	s_mul_i32 s2, s14, s7
	v_mul_lo_u32 v6, s17, v0
	v_mul_lo_u32 v7, s16, v1
	v_mad_u64_u32 v[0:1], s[4:5], s16, v0, 0
	s_lshl_b64 s[2:3], s[2:3], 1
	s_add_u32 s4, s6, s2
	s_addc_u32 s2, s8, s3
	v_add3_u32 v1, v1, v7, v6
	v_mov_b32_e32 v6, s2
	v_mul_lo_u32 v7, s19, v2
	v_mul_lo_u32 v8, s18, v3
	v_mad_u64_u32 v[2:3], s[2:3], s18, v2, 0
	v_lshlrev_b64 v[0:1], 1, v[0:1]
	v_mul_lo_u32 v5, s0, v5
	v_add_co_u32_e32 v9, vcc, s4, v0
	v_add3_u32 v3, v3, v8, v7
	v_addc_co_u32_e32 v6, vcc, v6, v1, vcc
	v_lshlrev_b64 v[0:1], 1, v[2:3]
	v_mul_lo_u32 v7, s1, v4
	v_mad_u64_u32 v[2:3], s[0:1], s0, v4, 0
	v_add_co_u32_e32 v4, vcc, v9, v0
	v_add3_u32 v3, v3, v5, v7
	v_addc_co_u32_e32 v6, vcc, v6, v1, vcc
	v_lshlrev_b64 v[0:1], 1, v[2:3]
	v_add_co_u32_e32 v0, vcc, v4, v0
	v_addc_co_u32_e32 v1, vcc, v6, v1, vcc
	global_store_short v[0:1], v40, off
.LBB6_39:
	s_endpgm
	.section	.rodata,"a",@progbits
	.p2align	6, 0x0
	.amdhsa_kernel _ZN2at6native12_GLOBAL__N_131fractional_max_pool3d_out_frameIN3c104HalfEEEvN5torch10headeronly6detail27GenericPackedTensorAccessorINS7_14TensorAccessorINS3_8ArrayRefIlEEKT_Lm4ENS6_16DefaultPtrTraitsElEENS_6detail16IndexBoundsCheckILm5ElEESD_Lm5ESE_lEENS8_INS9_ISB_SC_Lm4ESE_lEESI_SC_Lm5ESE_lEENS8_INS9_ISB_lLm4ESE_lEESI_lLm5ESE_lEENS8_INS9_ISB_SD_Lm2ESE_lEENSH_ILm3ElEESD_Lm3ESE_lEElll
		.amdhsa_group_segment_fixed_size 0
		.amdhsa_private_segment_fixed_size 0
		.amdhsa_kernarg_size 600
		.amdhsa_user_sgpr_count 6
		.amdhsa_user_sgpr_private_segment_buffer 1
		.amdhsa_user_sgpr_dispatch_ptr 0
		.amdhsa_user_sgpr_queue_ptr 0
		.amdhsa_user_sgpr_kernarg_segment_ptr 1
		.amdhsa_user_sgpr_dispatch_id 0
		.amdhsa_user_sgpr_flat_scratch_init 0
		.amdhsa_user_sgpr_private_segment_size 0
		.amdhsa_uses_dynamic_stack 0
		.amdhsa_system_sgpr_private_segment_wavefront_offset 0
		.amdhsa_system_sgpr_workgroup_id_x 1
		.amdhsa_system_sgpr_workgroup_id_y 1
		.amdhsa_system_sgpr_workgroup_id_z 1
		.amdhsa_system_sgpr_workgroup_info 0
		.amdhsa_system_vgpr_workitem_id 0
		.amdhsa_next_free_vgpr 44
		.amdhsa_next_free_sgpr 38
		.amdhsa_reserve_vcc 1
		.amdhsa_reserve_flat_scratch 0
		.amdhsa_float_round_mode_32 0
		.amdhsa_float_round_mode_16_64 0
		.amdhsa_float_denorm_mode_32 3
		.amdhsa_float_denorm_mode_16_64 3
		.amdhsa_dx10_clamp 1
		.amdhsa_ieee_mode 1
		.amdhsa_fp16_overflow 0
		.amdhsa_exception_fp_ieee_invalid_op 0
		.amdhsa_exception_fp_denorm_src 0
		.amdhsa_exception_fp_ieee_div_zero 0
		.amdhsa_exception_fp_ieee_overflow 0
		.amdhsa_exception_fp_ieee_underflow 0
		.amdhsa_exception_fp_ieee_inexact 0
		.amdhsa_exception_int_div_zero 0
	.end_amdhsa_kernel
	.section	.text._ZN2at6native12_GLOBAL__N_131fractional_max_pool3d_out_frameIN3c104HalfEEEvN5torch10headeronly6detail27GenericPackedTensorAccessorINS7_14TensorAccessorINS3_8ArrayRefIlEEKT_Lm4ENS6_16DefaultPtrTraitsElEENS_6detail16IndexBoundsCheckILm5ElEESD_Lm5ESE_lEENS8_INS9_ISB_SC_Lm4ESE_lEESI_SC_Lm5ESE_lEENS8_INS9_ISB_lLm4ESE_lEESI_lLm5ESE_lEENS8_INS9_ISB_SD_Lm2ESE_lEENSH_ILm3ElEESD_Lm3ESE_lEElll,"axG",@progbits,_ZN2at6native12_GLOBAL__N_131fractional_max_pool3d_out_frameIN3c104HalfEEEvN5torch10headeronly6detail27GenericPackedTensorAccessorINS7_14TensorAccessorINS3_8ArrayRefIlEEKT_Lm4ENS6_16DefaultPtrTraitsElEENS_6detail16IndexBoundsCheckILm5ElEESD_Lm5ESE_lEENS8_INS9_ISB_SC_Lm4ESE_lEESI_SC_Lm5ESE_lEENS8_INS9_ISB_lLm4ESE_lEESI_lLm5ESE_lEENS8_INS9_ISB_SD_Lm2ESE_lEENSH_ILm3ElEESD_Lm3ESE_lEElll,comdat
.Lfunc_end6:
	.size	_ZN2at6native12_GLOBAL__N_131fractional_max_pool3d_out_frameIN3c104HalfEEEvN5torch10headeronly6detail27GenericPackedTensorAccessorINS7_14TensorAccessorINS3_8ArrayRefIlEEKT_Lm4ENS6_16DefaultPtrTraitsElEENS_6detail16IndexBoundsCheckILm5ElEESD_Lm5ESE_lEENS8_INS9_ISB_SC_Lm4ESE_lEESI_SC_Lm5ESE_lEENS8_INS9_ISB_lLm4ESE_lEESI_lLm5ESE_lEENS8_INS9_ISB_SD_Lm2ESE_lEENSH_ILm3ElEESD_Lm3ESE_lEElll, .Lfunc_end6-_ZN2at6native12_GLOBAL__N_131fractional_max_pool3d_out_frameIN3c104HalfEEEvN5torch10headeronly6detail27GenericPackedTensorAccessorINS7_14TensorAccessorINS3_8ArrayRefIlEEKT_Lm4ENS6_16DefaultPtrTraitsElEENS_6detail16IndexBoundsCheckILm5ElEESD_Lm5ESE_lEENS8_INS9_ISB_SC_Lm4ESE_lEESI_SC_Lm5ESE_lEENS8_INS9_ISB_lLm4ESE_lEESI_lLm5ESE_lEENS8_INS9_ISB_SD_Lm2ESE_lEENSH_ILm3ElEESD_Lm3ESE_lEElll
                                        ; -- End function
	.set _ZN2at6native12_GLOBAL__N_131fractional_max_pool3d_out_frameIN3c104HalfEEEvN5torch10headeronly6detail27GenericPackedTensorAccessorINS7_14TensorAccessorINS3_8ArrayRefIlEEKT_Lm4ENS6_16DefaultPtrTraitsElEENS_6detail16IndexBoundsCheckILm5ElEESD_Lm5ESE_lEENS8_INS9_ISB_SC_Lm4ESE_lEESI_SC_Lm5ESE_lEENS8_INS9_ISB_lLm4ESE_lEESI_lLm5ESE_lEENS8_INS9_ISB_SD_Lm2ESE_lEENSH_ILm3ElEESD_Lm3ESE_lEElll.num_vgpr, 44
	.set _ZN2at6native12_GLOBAL__N_131fractional_max_pool3d_out_frameIN3c104HalfEEEvN5torch10headeronly6detail27GenericPackedTensorAccessorINS7_14TensorAccessorINS3_8ArrayRefIlEEKT_Lm4ENS6_16DefaultPtrTraitsElEENS_6detail16IndexBoundsCheckILm5ElEESD_Lm5ESE_lEENS8_INS9_ISB_SC_Lm4ESE_lEESI_SC_Lm5ESE_lEENS8_INS9_ISB_lLm4ESE_lEESI_lLm5ESE_lEENS8_INS9_ISB_SD_Lm2ESE_lEENSH_ILm3ElEESD_Lm3ESE_lEElll.num_agpr, 0
	.set _ZN2at6native12_GLOBAL__N_131fractional_max_pool3d_out_frameIN3c104HalfEEEvN5torch10headeronly6detail27GenericPackedTensorAccessorINS7_14TensorAccessorINS3_8ArrayRefIlEEKT_Lm4ENS6_16DefaultPtrTraitsElEENS_6detail16IndexBoundsCheckILm5ElEESD_Lm5ESE_lEENS8_INS9_ISB_SC_Lm4ESE_lEESI_SC_Lm5ESE_lEENS8_INS9_ISB_lLm4ESE_lEESI_lLm5ESE_lEENS8_INS9_ISB_SD_Lm2ESE_lEENSH_ILm3ElEESD_Lm3ESE_lEElll.numbered_sgpr, 38
	.set _ZN2at6native12_GLOBAL__N_131fractional_max_pool3d_out_frameIN3c104HalfEEEvN5torch10headeronly6detail27GenericPackedTensorAccessorINS7_14TensorAccessorINS3_8ArrayRefIlEEKT_Lm4ENS6_16DefaultPtrTraitsElEENS_6detail16IndexBoundsCheckILm5ElEESD_Lm5ESE_lEENS8_INS9_ISB_SC_Lm4ESE_lEESI_SC_Lm5ESE_lEENS8_INS9_ISB_lLm4ESE_lEESI_lLm5ESE_lEENS8_INS9_ISB_SD_Lm2ESE_lEENSH_ILm3ElEESD_Lm3ESE_lEElll.num_named_barrier, 0
	.set _ZN2at6native12_GLOBAL__N_131fractional_max_pool3d_out_frameIN3c104HalfEEEvN5torch10headeronly6detail27GenericPackedTensorAccessorINS7_14TensorAccessorINS3_8ArrayRefIlEEKT_Lm4ENS6_16DefaultPtrTraitsElEENS_6detail16IndexBoundsCheckILm5ElEESD_Lm5ESE_lEENS8_INS9_ISB_SC_Lm4ESE_lEESI_SC_Lm5ESE_lEENS8_INS9_ISB_lLm4ESE_lEESI_lLm5ESE_lEENS8_INS9_ISB_SD_Lm2ESE_lEENSH_ILm3ElEESD_Lm3ESE_lEElll.private_seg_size, 0
	.set _ZN2at6native12_GLOBAL__N_131fractional_max_pool3d_out_frameIN3c104HalfEEEvN5torch10headeronly6detail27GenericPackedTensorAccessorINS7_14TensorAccessorINS3_8ArrayRefIlEEKT_Lm4ENS6_16DefaultPtrTraitsElEENS_6detail16IndexBoundsCheckILm5ElEESD_Lm5ESE_lEENS8_INS9_ISB_SC_Lm4ESE_lEESI_SC_Lm5ESE_lEENS8_INS9_ISB_lLm4ESE_lEESI_lLm5ESE_lEENS8_INS9_ISB_SD_Lm2ESE_lEENSH_ILm3ElEESD_Lm3ESE_lEElll.uses_vcc, 1
	.set _ZN2at6native12_GLOBAL__N_131fractional_max_pool3d_out_frameIN3c104HalfEEEvN5torch10headeronly6detail27GenericPackedTensorAccessorINS7_14TensorAccessorINS3_8ArrayRefIlEEKT_Lm4ENS6_16DefaultPtrTraitsElEENS_6detail16IndexBoundsCheckILm5ElEESD_Lm5ESE_lEENS8_INS9_ISB_SC_Lm4ESE_lEESI_SC_Lm5ESE_lEENS8_INS9_ISB_lLm4ESE_lEESI_lLm5ESE_lEENS8_INS9_ISB_SD_Lm2ESE_lEENSH_ILm3ElEESD_Lm3ESE_lEElll.uses_flat_scratch, 0
	.set _ZN2at6native12_GLOBAL__N_131fractional_max_pool3d_out_frameIN3c104HalfEEEvN5torch10headeronly6detail27GenericPackedTensorAccessorINS7_14TensorAccessorINS3_8ArrayRefIlEEKT_Lm4ENS6_16DefaultPtrTraitsElEENS_6detail16IndexBoundsCheckILm5ElEESD_Lm5ESE_lEENS8_INS9_ISB_SC_Lm4ESE_lEESI_SC_Lm5ESE_lEENS8_INS9_ISB_lLm4ESE_lEESI_lLm5ESE_lEENS8_INS9_ISB_SD_Lm2ESE_lEENSH_ILm3ElEESD_Lm3ESE_lEElll.has_dyn_sized_stack, 0
	.set _ZN2at6native12_GLOBAL__N_131fractional_max_pool3d_out_frameIN3c104HalfEEEvN5torch10headeronly6detail27GenericPackedTensorAccessorINS7_14TensorAccessorINS3_8ArrayRefIlEEKT_Lm4ENS6_16DefaultPtrTraitsElEENS_6detail16IndexBoundsCheckILm5ElEESD_Lm5ESE_lEENS8_INS9_ISB_SC_Lm4ESE_lEESI_SC_Lm5ESE_lEENS8_INS9_ISB_lLm4ESE_lEESI_lLm5ESE_lEENS8_INS9_ISB_SD_Lm2ESE_lEENSH_ILm3ElEESD_Lm3ESE_lEElll.has_recursion, 0
	.set _ZN2at6native12_GLOBAL__N_131fractional_max_pool3d_out_frameIN3c104HalfEEEvN5torch10headeronly6detail27GenericPackedTensorAccessorINS7_14TensorAccessorINS3_8ArrayRefIlEEKT_Lm4ENS6_16DefaultPtrTraitsElEENS_6detail16IndexBoundsCheckILm5ElEESD_Lm5ESE_lEENS8_INS9_ISB_SC_Lm4ESE_lEESI_SC_Lm5ESE_lEENS8_INS9_ISB_lLm4ESE_lEESI_lLm5ESE_lEENS8_INS9_ISB_SD_Lm2ESE_lEENSH_ILm3ElEESD_Lm3ESE_lEElll.has_indirect_call, 0
	.section	.AMDGPU.csdata,"",@progbits
; Kernel info:
; codeLenInByte = 5256
; TotalNumSgprs: 42
; NumVgprs: 44
; ScratchSize: 0
; MemoryBound: 0
; FloatMode: 240
; IeeeMode: 1
; LDSByteSize: 0 bytes/workgroup (compile time only)
; SGPRBlocks: 5
; VGPRBlocks: 10
; NumSGPRsForWavesPerEU: 42
; NumVGPRsForWavesPerEU: 44
; Occupancy: 5
; WaveLimiterHint : 1
; COMPUTE_PGM_RSRC2:SCRATCH_EN: 0
; COMPUTE_PGM_RSRC2:USER_SGPR: 6
; COMPUTE_PGM_RSRC2:TRAP_HANDLER: 0
; COMPUTE_PGM_RSRC2:TGID_X_EN: 1
; COMPUTE_PGM_RSRC2:TGID_Y_EN: 1
; COMPUTE_PGM_RSRC2:TGID_Z_EN: 1
; COMPUTE_PGM_RSRC2:TIDIG_COMP_CNT: 0
	.section	.text._ZN2at6native12_GLOBAL__N_131fractional_max_pool3d_out_frameIN3c108BFloat16EEEvN5torch10headeronly6detail27GenericPackedTensorAccessorINS7_14TensorAccessorINS3_8ArrayRefIlEEKT_Lm4ENS6_16DefaultPtrTraitsElEENS_6detail16IndexBoundsCheckILm5ElEESD_Lm5ESE_lEENS8_INS9_ISB_SC_Lm4ESE_lEESI_SC_Lm5ESE_lEENS8_INS9_ISB_lLm4ESE_lEESI_lLm5ESE_lEENS8_INS9_ISB_SD_Lm2ESE_lEENSH_ILm3ElEESD_Lm3ESE_lEElll,"axG",@progbits,_ZN2at6native12_GLOBAL__N_131fractional_max_pool3d_out_frameIN3c108BFloat16EEEvN5torch10headeronly6detail27GenericPackedTensorAccessorINS7_14TensorAccessorINS3_8ArrayRefIlEEKT_Lm4ENS6_16DefaultPtrTraitsElEENS_6detail16IndexBoundsCheckILm5ElEESD_Lm5ESE_lEENS8_INS9_ISB_SC_Lm4ESE_lEESI_SC_Lm5ESE_lEENS8_INS9_ISB_lLm4ESE_lEESI_lLm5ESE_lEENS8_INS9_ISB_SD_Lm2ESE_lEENSH_ILm3ElEESD_Lm3ESE_lEElll,comdat
	.globl	_ZN2at6native12_GLOBAL__N_131fractional_max_pool3d_out_frameIN3c108BFloat16EEEvN5torch10headeronly6detail27GenericPackedTensorAccessorINS7_14TensorAccessorINS3_8ArrayRefIlEEKT_Lm4ENS6_16DefaultPtrTraitsElEENS_6detail16IndexBoundsCheckILm5ElEESD_Lm5ESE_lEENS8_INS9_ISB_SC_Lm4ESE_lEESI_SC_Lm5ESE_lEENS8_INS9_ISB_lLm4ESE_lEESI_lLm5ESE_lEENS8_INS9_ISB_SD_Lm2ESE_lEENSH_ILm3ElEESD_Lm3ESE_lEElll ; -- Begin function _ZN2at6native12_GLOBAL__N_131fractional_max_pool3d_out_frameIN3c108BFloat16EEEvN5torch10headeronly6detail27GenericPackedTensorAccessorINS7_14TensorAccessorINS3_8ArrayRefIlEEKT_Lm4ENS6_16DefaultPtrTraitsElEENS_6detail16IndexBoundsCheckILm5ElEESD_Lm5ESE_lEENS8_INS9_ISB_SC_Lm4ESE_lEESI_SC_Lm5ESE_lEENS8_INS9_ISB_lLm4ESE_lEESI_lLm5ESE_lEENS8_INS9_ISB_SD_Lm2ESE_lEENSH_ILm3ElEESD_Lm3ESE_lEElll
	.p2align	8
	.type	_ZN2at6native12_GLOBAL__N_131fractional_max_pool3d_out_frameIN3c108BFloat16EEEvN5torch10headeronly6detail27GenericPackedTensorAccessorINS7_14TensorAccessorINS3_8ArrayRefIlEEKT_Lm4ENS6_16DefaultPtrTraitsElEENS_6detail16IndexBoundsCheckILm5ElEESD_Lm5ESE_lEENS8_INS9_ISB_SC_Lm4ESE_lEESI_SC_Lm5ESE_lEENS8_INS9_ISB_lLm4ESE_lEESI_lLm5ESE_lEENS8_INS9_ISB_SD_Lm2ESE_lEENSH_ILm3ElEESD_Lm3ESE_lEElll,@function
_ZN2at6native12_GLOBAL__N_131fractional_max_pool3d_out_frameIN3c108BFloat16EEEvN5torch10headeronly6detail27GenericPackedTensorAccessorINS7_14TensorAccessorINS3_8ArrayRefIlEEKT_Lm4ENS6_16DefaultPtrTraitsElEENS_6detail16IndexBoundsCheckILm5ElEESD_Lm5ESE_lEENS8_INS9_ISB_SC_Lm4ESE_lEESI_SC_Lm5ESE_lEENS8_INS9_ISB_lLm4ESE_lEESI_lLm5ESE_lEENS8_INS9_ISB_SD_Lm2ESE_lEENSH_ILm3ElEESD_Lm3ESE_lEElll: ; @_ZN2at6native12_GLOBAL__N_131fractional_max_pool3d_out_frameIN3c108BFloat16EEEvN5torch10headeronly6detail27GenericPackedTensorAccessorINS7_14TensorAccessorINS3_8ArrayRefIlEEKT_Lm4ENS6_16DefaultPtrTraitsElEENS_6detail16IndexBoundsCheckILm5ElEESD_Lm5ESE_lEENS8_INS9_ISB_SC_Lm4ESE_lEESI_SC_Lm5ESE_lEENS8_INS9_ISB_lLm4ESE_lEESI_lLm5ESE_lEENS8_INS9_ISB_SD_Lm2ESE_lEENSH_ILm3ElEESD_Lm3ESE_lEElll
; %bb.0:
	s_load_dword s0, s[4:5], 0x164
	s_load_dwordx4 s[12:15], s[4:5], 0x70
	s_load_dwordx2 s[10:11], s[4:5], 0x80
	v_mov_b32_e32 v2, 0
	v_mov_b32_e32 v1, v2
	;; [unrolled: 1-line block ×3, first 2 shown]
	s_waitcnt lgkmcnt(0)
	s_and_b32 s0, s0, 0xffff
	v_mad_u64_u32 v[4:5], s[0:1], s0, v3, v[0:1]
	s_mul_i32 s0, s10, s15
	s_mul_hi_u32 s1, s10, s14
	s_add_i32 s0, s1, s0
	s_mul_i32 s1, s11, s14
	s_mul_i32 s6, s10, s14
	s_add_i32 s0, s0, s1
	s_mul_i32 s1, s6, s13
	s_mul_hi_u32 s2, s6, s12
	s_add_i32 s1, s2, s1
	s_mul_i32 s2, s0, s12
	s_add_i32 s3, s1, s2
	s_mul_i32 s2, s6, s12
	v_cmp_gt_i64_e32 vcc, s[2:3], v[4:5]
	s_and_saveexec_b64 s[2:3], vcc
	s_cbranch_execz .LBB7_39
; %bb.1:
	v_or_b32_e32 v3, s0, v5
	v_cmp_ne_u64_e32 vcc, 0, v[2:3]
	v_ashrrev_i32_e32 v2, 31, v5
                                        ; implicit-def: $vgpr0_vgpr1
	s_and_saveexec_b64 s[2:3], vcc
	s_xor_b64 s[2:3], exec, s[2:3]
	s_cbranch_execz .LBB7_3
; %bb.2:
	s_ashr_i32 s16, s0, 31
	s_add_u32 s18, s6, s16
	s_mov_b32 s17, s16
	s_addc_u32 s19, s0, s16
	s_xor_b64 s[18:19], s[18:19], s[16:17]
	v_cvt_f32_u32_e32 v0, s18
	v_cvt_f32_u32_e32 v1, s19
	s_sub_u32 s9, 0, s18
	s_subb_u32 s17, 0, s19
	v_madmk_f32 v0, v1, 0x4f800000, v0
	v_rcp_f32_e32 v0, v0
	v_mul_f32_e32 v0, 0x5f7ffffc, v0
	v_mul_f32_e32 v1, 0x2f800000, v0
	v_trunc_f32_e32 v1, v1
	v_madmk_f32 v0, v1, 0xcf800000, v0
	v_cvt_u32_f32_e32 v1, v1
	v_cvt_u32_f32_e32 v0, v0
	v_readfirstlane_b32 s20, v1
	v_readfirstlane_b32 s0, v0
	s_mul_i32 s1, s9, s20
	s_mul_hi_u32 s22, s9, s0
	s_mul_i32 s21, s17, s0
	s_add_i32 s1, s22, s1
	s_add_i32 s1, s1, s21
	s_mul_i32 s23, s9, s0
	s_mul_i32 s22, s0, s1
	s_mul_hi_u32 s24, s0, s23
	s_mul_hi_u32 s21, s0, s1
	s_add_u32 s22, s24, s22
	s_addc_u32 s21, 0, s21
	s_mul_hi_u32 s25, s20, s23
	s_mul_i32 s23, s20, s23
	s_add_u32 s22, s22, s23
	s_mul_hi_u32 s24, s20, s1
	s_addc_u32 s21, s21, s25
	s_addc_u32 s22, s24, 0
	s_mul_i32 s1, s20, s1
	s_add_u32 s1, s21, s1
	s_addc_u32 s21, 0, s22
	s_add_u32 s22, s0, s1
	s_cselect_b64 s[0:1], -1, 0
	s_cmp_lg_u64 s[0:1], 0
	s_addc_u32 s20, s20, s21
	s_mul_i32 s0, s9, s20
	s_mul_hi_u32 s1, s9, s22
	s_add_i32 s0, s1, s0
	s_mul_i32 s17, s17, s22
	s_add_i32 s0, s0, s17
	s_mul_i32 s9, s9, s22
	s_mul_hi_u32 s17, s20, s9
	s_mul_i32 s21, s20, s9
	s_mul_i32 s24, s22, s0
	s_mul_hi_u32 s9, s22, s9
	s_mul_hi_u32 s23, s22, s0
	s_add_u32 s9, s9, s24
	s_addc_u32 s23, 0, s23
	s_add_u32 s9, s9, s21
	s_mul_hi_u32 s1, s20, s0
	s_addc_u32 s9, s23, s17
	s_addc_u32 s1, s1, 0
	s_mul_i32 s0, s20, s0
	s_add_u32 s0, s9, s0
	s_addc_u32 s9, 0, s1
	s_add_u32 s17, s22, s0
	s_cselect_b64 s[0:1], -1, 0
	s_cmp_lg_u64 s[0:1], 0
	v_add_co_u32_e32 v0, vcc, v4, v2
	s_addc_u32 s9, s20, s9
	v_xor_b32_e32 v8, v0, v2
	v_mad_u64_u32 v[0:1], s[0:1], v8, s9, 0
	v_mul_hi_u32 v6, v8, s17
	v_addc_co_u32_e32 v3, vcc, v5, v2, vcc
	v_xor_b32_e32 v3, v3, v2
	v_add_co_u32_e32 v9, vcc, v6, v0
	v_addc_co_u32_e32 v10, vcc, 0, v1, vcc
	v_mad_u64_u32 v[0:1], s[0:1], v3, s17, 0
	v_mad_u64_u32 v[6:7], s[0:1], v3, s9, 0
	v_add_co_u32_e32 v0, vcc, v9, v0
	v_addc_co_u32_e32 v0, vcc, v10, v1, vcc
	v_addc_co_u32_e32 v1, vcc, 0, v7, vcc
	v_add_co_u32_e32 v6, vcc, v0, v6
	v_addc_co_u32_e32 v7, vcc, 0, v1, vcc
	v_mul_lo_u32 v9, s19, v6
	v_mul_lo_u32 v10, s18, v7
	v_mad_u64_u32 v[0:1], s[0:1], s18, v6, 0
	v_add3_u32 v1, v1, v10, v9
	v_sub_u32_e32 v9, v3, v1
	v_mov_b32_e32 v10, s19
	v_sub_co_u32_e32 v0, vcc, v8, v0
	v_subb_co_u32_e64 v8, s[0:1], v9, v10, vcc
	v_subrev_co_u32_e64 v9, s[0:1], s18, v0
	v_subbrev_co_u32_e64 v8, s[0:1], 0, v8, s[0:1]
	v_cmp_le_u32_e64 s[0:1], s19, v8
	v_cndmask_b32_e64 v10, 0, -1, s[0:1]
	v_cmp_le_u32_e64 s[0:1], s18, v9
	v_cndmask_b32_e64 v9, 0, -1, s[0:1]
	v_cmp_eq_u32_e64 s[0:1], s19, v8
	v_cndmask_b32_e64 v8, v10, v9, s[0:1]
	v_add_co_u32_e64 v9, s[0:1], 2, v6
	v_subb_co_u32_e32 v1, vcc, v3, v1, vcc
	v_addc_co_u32_e64 v10, s[0:1], 0, v7, s[0:1]
	v_cmp_le_u32_e32 vcc, s19, v1
	v_add_co_u32_e64 v11, s[0:1], 1, v6
	v_cndmask_b32_e64 v3, 0, -1, vcc
	v_cmp_le_u32_e32 vcc, s18, v0
	v_addc_co_u32_e64 v12, s[0:1], 0, v7, s[0:1]
	v_cndmask_b32_e64 v0, 0, -1, vcc
	v_cmp_eq_u32_e32 vcc, s19, v1
	v_cmp_ne_u32_e64 s[0:1], 0, v8
	v_cndmask_b32_e32 v0, v3, v0, vcc
	v_cndmask_b32_e64 v8, v12, v10, s[0:1]
	v_cmp_ne_u32_e32 vcc, 0, v0
	v_cndmask_b32_e64 v1, v11, v9, s[0:1]
	v_cndmask_b32_e32 v0, v7, v8, vcc
	v_cndmask_b32_e32 v1, v6, v1, vcc
	v_xor_b32_e32 v3, s16, v2
	v_xor_b32_e32 v6, v0, v3
	;; [unrolled: 1-line block ×3, first 2 shown]
	v_sub_co_u32_e32 v0, vcc, v0, v3
	v_subb_co_u32_e32 v1, vcc, v6, v3, vcc
.LBB7_3:
	s_andn2_saveexec_b64 s[0:1], s[2:3]
	s_cbranch_execz .LBB7_5
; %bb.4:
	v_cvt_f32_u32_e32 v0, s6
	s_sub_i32 s2, 0, s6
	v_rcp_iflag_f32_e32 v0, v0
	v_mul_f32_e32 v0, 0x4f7ffffe, v0
	v_cvt_u32_f32_e32 v0, v0
	v_mul_lo_u32 v1, s2, v0
	v_mul_hi_u32 v1, v0, v1
	v_add_u32_e32 v0, v0, v1
	v_mul_hi_u32 v0, v4, v0
	v_mul_lo_u32 v1, v0, s6
	v_add_u32_e32 v3, 1, v0
	v_sub_u32_e32 v1, v4, v1
	v_subrev_u32_e32 v6, s6, v1
	v_cmp_le_u32_e32 vcc, s6, v1
	v_cndmask_b32_e32 v1, v1, v6, vcc
	v_cndmask_b32_e32 v0, v0, v3, vcc
	v_add_u32_e32 v3, 1, v0
	v_cmp_le_u32_e32 vcc, s6, v1
	v_cndmask_b32_e32 v0, v0, v3, vcc
	v_mov_b32_e32 v1, 0
.LBB7_5:
	s_or_b64 exec, exec, s[0:1]
	v_or_b32_e32 v7, s11, v5
	v_mov_b32_e32 v6, 0
	v_cmp_ne_u64_e32 vcc, 0, v[6:7]
                                        ; implicit-def: $vgpr10_vgpr11
	s_and_saveexec_b64 s[0:1], vcc
	s_xor_b64 s[2:3], exec, s[0:1]
	s_cbranch_execz .LBB7_7
; %bb.6:
	s_ashr_i32 s16, s11, 31
	s_add_u32 s0, s10, s16
	s_mov_b32 s17, s16
	s_addc_u32 s1, s11, s16
	s_xor_b64 s[18:19], s[0:1], s[16:17]
	v_cvt_f32_u32_e32 v3, s18
	v_cvt_f32_u32_e32 v6, s19
	s_sub_u32 s6, 0, s18
	s_subb_u32 s9, 0, s19
	v_madmk_f32 v3, v6, 0x4f800000, v3
	v_rcp_f32_e32 v3, v3
	v_mul_f32_e32 v3, 0x5f7ffffc, v3
	v_mul_f32_e32 v6, 0x2f800000, v3
	v_trunc_f32_e32 v6, v6
	v_madmk_f32 v3, v6, 0xcf800000, v3
	v_cvt_u32_f32_e32 v6, v6
	v_cvt_u32_f32_e32 v3, v3
	v_readfirstlane_b32 s17, v6
	v_readfirstlane_b32 s0, v3
	s_mul_i32 s1, s6, s17
	s_mul_hi_u32 s21, s6, s0
	s_mul_i32 s20, s9, s0
	s_add_i32 s1, s21, s1
	s_add_i32 s1, s1, s20
	s_mul_i32 s22, s6, s0
	s_mul_i32 s21, s0, s1
	s_mul_hi_u32 s23, s0, s22
	s_mul_hi_u32 s20, s0, s1
	s_add_u32 s21, s23, s21
	s_addc_u32 s20, 0, s20
	s_mul_hi_u32 s24, s17, s22
	s_mul_i32 s22, s17, s22
	s_add_u32 s21, s21, s22
	s_mul_hi_u32 s23, s17, s1
	s_addc_u32 s20, s20, s24
	s_addc_u32 s21, s23, 0
	s_mul_i32 s1, s17, s1
	s_add_u32 s1, s20, s1
	s_addc_u32 s20, 0, s21
	s_add_u32 s21, s0, s1
	s_cselect_b64 s[0:1], -1, 0
	s_cmp_lg_u64 s[0:1], 0
	s_addc_u32 s17, s17, s20
	s_mul_i32 s0, s6, s17
	s_mul_hi_u32 s1, s6, s21
	s_add_i32 s0, s1, s0
	s_mul_i32 s9, s9, s21
	s_add_i32 s0, s0, s9
	s_mul_i32 s6, s6, s21
	s_mul_hi_u32 s9, s17, s6
	s_mul_i32 s20, s17, s6
	s_mul_i32 s23, s21, s0
	s_mul_hi_u32 s6, s21, s6
	s_mul_hi_u32 s22, s21, s0
	s_add_u32 s6, s6, s23
	s_addc_u32 s22, 0, s22
	s_add_u32 s6, s6, s20
	s_mul_hi_u32 s1, s17, s0
	s_addc_u32 s6, s22, s9
	s_addc_u32 s1, s1, 0
	s_mul_i32 s0, s17, s0
	s_add_u32 s0, s6, s0
	s_addc_u32 s6, 0, s1
	s_add_u32 s9, s21, s0
	s_cselect_b64 s[0:1], -1, 0
	s_cmp_lg_u64 s[0:1], 0
	v_add_co_u32_e32 v3, vcc, v4, v2
	s_addc_u32 s6, s17, s6
	v_xor_b32_e32 v3, v3, v2
	v_mad_u64_u32 v[6:7], s[0:1], v3, s6, 0
	v_mul_hi_u32 v9, v3, s9
	v_addc_co_u32_e32 v8, vcc, v5, v2, vcc
	v_xor_b32_e32 v10, v8, v2
	v_add_co_u32_e32 v11, vcc, v9, v6
	v_addc_co_u32_e32 v12, vcc, 0, v7, vcc
	v_mad_u64_u32 v[6:7], s[0:1], v10, s9, 0
	v_mad_u64_u32 v[8:9], s[0:1], v10, s6, 0
	v_add_co_u32_e32 v6, vcc, v11, v6
	v_addc_co_u32_e32 v6, vcc, v12, v7, vcc
	v_addc_co_u32_e32 v7, vcc, 0, v9, vcc
	v_add_co_u32_e32 v8, vcc, v6, v8
	v_addc_co_u32_e32 v9, vcc, 0, v7, vcc
	v_mul_lo_u32 v11, s19, v8
	v_mul_lo_u32 v12, s18, v9
	v_mad_u64_u32 v[6:7], s[0:1], s18, v8, 0
	v_xor_b32_e32 v2, s16, v2
	v_add3_u32 v7, v7, v12, v11
	v_sub_u32_e32 v11, v10, v7
	v_mov_b32_e32 v12, s19
	v_sub_co_u32_e32 v3, vcc, v3, v6
	v_subb_co_u32_e64 v6, s[0:1], v11, v12, vcc
	v_subrev_co_u32_e64 v11, s[0:1], s18, v3
	v_subbrev_co_u32_e64 v6, s[0:1], 0, v6, s[0:1]
	v_cmp_le_u32_e64 s[0:1], s19, v6
	v_cndmask_b32_e64 v12, 0, -1, s[0:1]
	v_cmp_le_u32_e64 s[0:1], s18, v11
	v_cndmask_b32_e64 v11, 0, -1, s[0:1]
	v_cmp_eq_u32_e64 s[0:1], s19, v6
	v_cndmask_b32_e64 v6, v12, v11, s[0:1]
	v_add_co_u32_e64 v11, s[0:1], 2, v8
	v_subb_co_u32_e32 v7, vcc, v10, v7, vcc
	v_addc_co_u32_e64 v12, s[0:1], 0, v9, s[0:1]
	v_cmp_le_u32_e32 vcc, s19, v7
	v_add_co_u32_e64 v13, s[0:1], 1, v8
	v_cndmask_b32_e64 v10, 0, -1, vcc
	v_cmp_le_u32_e32 vcc, s18, v3
	v_addc_co_u32_e64 v14, s[0:1], 0, v9, s[0:1]
	v_cndmask_b32_e64 v3, 0, -1, vcc
	v_cmp_eq_u32_e32 vcc, s19, v7
	v_cmp_ne_u32_e64 s[0:1], 0, v6
	v_cndmask_b32_e32 v3, v10, v3, vcc
	v_cndmask_b32_e64 v6, v14, v12, s[0:1]
	v_cmp_ne_u32_e32 vcc, 0, v3
	v_cndmask_b32_e32 v3, v9, v6, vcc
	v_cndmask_b32_e64 v6, v13, v11, s[0:1]
	v_cndmask_b32_e32 v6, v8, v6, vcc
	v_xor_b32_e32 v6, v6, v2
	v_xor_b32_e32 v3, v3, v2
	v_sub_co_u32_e32 v10, vcc, v6, v2
	v_subb_co_u32_e32 v11, vcc, v3, v2, vcc
.LBB7_7:
	s_andn2_saveexec_b64 s[0:1], s[2:3]
	s_cbranch_execz .LBB7_9
; %bb.8:
	v_cvt_f32_u32_e32 v2, s10
	s_sub_i32 s2, 0, s10
	v_mov_b32_e32 v11, 0
	v_rcp_iflag_f32_e32 v2, v2
	v_mul_f32_e32 v2, 0x4f7ffffe, v2
	v_cvt_u32_f32_e32 v2, v2
	v_mul_lo_u32 v3, s2, v2
	v_mul_hi_u32 v3, v2, v3
	v_add_u32_e32 v2, v2, v3
	v_mul_hi_u32 v2, v4, v2
	v_mul_lo_u32 v3, v2, s10
	v_add_u32_e32 v6, 1, v2
	v_sub_u32_e32 v3, v4, v3
	v_subrev_u32_e32 v7, s10, v3
	v_cmp_le_u32_e32 vcc, s10, v3
	v_cndmask_b32_e32 v3, v3, v7, vcc
	v_cndmask_b32_e32 v2, v2, v6, vcc
	v_add_u32_e32 v6, 1, v2
	v_cmp_le_u32_e32 vcc, s10, v3
	v_cndmask_b32_e32 v10, v2, v6, vcc
.LBB7_9:
	s_or_b64 exec, exec, s[0:1]
	v_or_b32_e32 v3, s15, v11
	v_mov_b32_e32 v2, 0
	v_cmp_ne_u64_e32 vcc, 0, v[2:3]
                                        ; implicit-def: $vgpr2_vgpr3
	s_and_saveexec_b64 s[0:1], vcc
	s_xor_b64 s[16:17], exec, s[0:1]
	s_cbranch_execz .LBB7_11
; %bb.10:
	s_ashr_i32 s0, s15, 31
	s_add_u32 s2, s14, s0
	s_mov_b32 s1, s0
	s_addc_u32 s3, s15, s0
	s_xor_b64 s[18:19], s[2:3], s[0:1]
	v_cvt_f32_u32_e32 v2, s18
	v_cvt_f32_u32_e32 v3, s19
	s_sub_u32 s2, 0, s18
	s_subb_u32 s3, 0, s19
	v_ashrrev_i32_e32 v8, 31, v11
	v_madmk_f32 v2, v3, 0x4f800000, v2
	v_rcp_f32_e32 v2, v2
	v_mul_f32_e32 v2, 0x5f7ffffc, v2
	v_mul_f32_e32 v3, 0x2f800000, v2
	v_trunc_f32_e32 v3, v3
	v_madmk_f32 v2, v3, 0xcf800000, v2
	v_cvt_u32_f32_e32 v3, v3
	v_cvt_u32_f32_e32 v2, v2
	v_readfirstlane_b32 s6, v3
	v_readfirstlane_b32 s0, v2
	s_mul_i32 s1, s2, s6
	s_mul_hi_u32 s20, s2, s0
	s_mul_i32 s9, s3, s0
	s_add_i32 s1, s20, s1
	s_add_i32 s1, s1, s9
	s_mul_i32 s21, s2, s0
	s_mul_i32 s20, s0, s1
	s_mul_hi_u32 s22, s0, s21
	s_mul_hi_u32 s9, s0, s1
	s_add_u32 s20, s22, s20
	s_addc_u32 s9, 0, s9
	s_mul_hi_u32 s23, s6, s21
	s_mul_i32 s21, s6, s21
	s_add_u32 s20, s20, s21
	s_mul_hi_u32 s22, s6, s1
	s_addc_u32 s9, s9, s23
	s_addc_u32 s20, s22, 0
	s_mul_i32 s1, s6, s1
	s_add_u32 s1, s9, s1
	s_addc_u32 s9, 0, s20
	s_add_u32 s20, s0, s1
	s_cselect_b64 s[0:1], -1, 0
	s_cmp_lg_u64 s[0:1], 0
	s_addc_u32 s6, s6, s9
	s_mul_i32 s0, s2, s6
	s_mul_hi_u32 s1, s2, s20
	s_add_i32 s0, s1, s0
	s_mul_i32 s3, s3, s20
	s_add_i32 s0, s0, s3
	s_mul_i32 s2, s2, s20
	s_mul_hi_u32 s3, s6, s2
	s_mul_i32 s9, s6, s2
	s_mul_i32 s22, s20, s0
	s_mul_hi_u32 s2, s20, s2
	s_mul_hi_u32 s21, s20, s0
	s_add_u32 s2, s2, s22
	s_addc_u32 s21, 0, s21
	s_add_u32 s2, s2, s9
	s_mul_hi_u32 s1, s6, s0
	s_addc_u32 s2, s21, s3
	s_addc_u32 s1, s1, 0
	s_mul_i32 s0, s6, s0
	s_add_u32 s0, s2, s0
	s_addc_u32 s2, 0, s1
	s_add_u32 s3, s20, s0
	s_cselect_b64 s[0:1], -1, 0
	s_cmp_lg_u64 s[0:1], 0
	v_add_co_u32_e32 v2, vcc, v10, v8
	s_addc_u32 s2, s6, s2
	v_xor_b32_e32 v9, v2, v8
	v_mad_u64_u32 v[2:3], s[0:1], v9, s2, 0
	v_mul_hi_u32 v7, v9, s3
	v_addc_co_u32_e32 v6, vcc, v11, v8, vcc
	v_xor_b32_e32 v12, v6, v8
	v_add_co_u32_e32 v13, vcc, v7, v2
	v_addc_co_u32_e32 v14, vcc, 0, v3, vcc
	v_mad_u64_u32 v[2:3], s[0:1], v12, s3, 0
	v_mad_u64_u32 v[6:7], s[0:1], v12, s2, 0
	v_add_co_u32_e32 v2, vcc, v13, v2
	v_addc_co_u32_e32 v2, vcc, v14, v3, vcc
	v_addc_co_u32_e32 v3, vcc, 0, v7, vcc
	v_add_co_u32_e32 v2, vcc, v2, v6
	v_addc_co_u32_e32 v3, vcc, 0, v3, vcc
	v_mul_lo_u32 v6, s19, v2
	v_mul_lo_u32 v7, s18, v3
	v_mad_u64_u32 v[2:3], s[0:1], s18, v2, 0
	v_add3_u32 v3, v3, v7, v6
	v_sub_u32_e32 v6, v12, v3
	v_mov_b32_e32 v7, s19
	v_sub_co_u32_e32 v2, vcc, v9, v2
	v_subb_co_u32_e64 v6, s[0:1], v6, v7, vcc
	v_subrev_co_u32_e64 v9, s[0:1], s18, v2
	v_subbrev_co_u32_e64 v13, s[2:3], 0, v6, s[0:1]
	v_cmp_le_u32_e64 s[2:3], s19, v13
	v_cndmask_b32_e64 v14, 0, -1, s[2:3]
	v_cmp_le_u32_e64 s[2:3], s18, v9
	v_subb_co_u32_e64 v6, s[0:1], v6, v7, s[0:1]
	v_cndmask_b32_e64 v15, 0, -1, s[2:3]
	v_cmp_eq_u32_e64 s[2:3], s19, v13
	v_subrev_co_u32_e64 v7, s[0:1], s18, v9
	v_subb_co_u32_e32 v3, vcc, v12, v3, vcc
	v_cndmask_b32_e64 v14, v14, v15, s[2:3]
	v_subbrev_co_u32_e64 v6, s[0:1], 0, v6, s[0:1]
	v_cmp_le_u32_e32 vcc, s19, v3
	v_cmp_ne_u32_e64 s[0:1], 0, v14
	v_cndmask_b32_e64 v12, 0, -1, vcc
	v_cmp_le_u32_e32 vcc, s18, v2
	v_cndmask_b32_e64 v6, v13, v6, s[0:1]
	v_cndmask_b32_e64 v13, 0, -1, vcc
	v_cmp_eq_u32_e32 vcc, s19, v3
	v_cndmask_b32_e32 v12, v12, v13, vcc
	v_cmp_ne_u32_e32 vcc, 0, v12
	v_cndmask_b32_e32 v3, v3, v6, vcc
	v_cndmask_b32_e64 v6, v9, v7, s[0:1]
	v_cndmask_b32_e32 v2, v2, v6, vcc
	v_xor_b32_e32 v2, v2, v8
	v_xor_b32_e32 v3, v3, v8
	v_sub_co_u32_e32 v2, vcc, v2, v8
	v_subb_co_u32_e32 v3, vcc, v3, v8, vcc
.LBB7_11:
	s_andn2_saveexec_b64 s[0:1], s[16:17]
	s_cbranch_execz .LBB7_13
; %bb.12:
	v_cvt_f32_u32_e32 v2, s14
	s_sub_i32 s2, 0, s14
	v_rcp_iflag_f32_e32 v2, v2
	v_mul_f32_e32 v2, 0x4f7ffffe, v2
	v_cvt_u32_f32_e32 v2, v2
	v_mul_lo_u32 v3, s2, v2
	v_mul_hi_u32 v3, v2, v3
	v_add_u32_e32 v2, v2, v3
	v_mul_hi_u32 v2, v10, v2
	v_mul_lo_u32 v2, v2, s14
	v_sub_u32_e32 v2, v10, v2
	v_subrev_u32_e32 v3, s14, v2
	v_cmp_le_u32_e32 vcc, s14, v2
	v_cndmask_b32_e32 v2, v2, v3, vcc
	v_subrev_u32_e32 v3, s14, v2
	v_cmp_le_u32_e32 vcc, s14, v2
	v_cndmask_b32_e32 v2, v2, v3, vcc
	v_mov_b32_e32 v3, 0
.LBB7_13:
	s_or_b64 exec, exec, s[0:1]
	s_load_dwordx4 s[16:19], s[4:5], 0x128
	s_load_dwordx4 s[0:3], s[4:5], 0x140
	s_load_dwordx2 s[20:21], s[4:5], 0x150
	s_load_dwordx2 s[22:23], s[4:5], 0x108
	s_load_dwordx2 s[24:25], s[4:5], 0x18
	s_waitcnt lgkmcnt(0)
	s_mul_i32 s6, s17, s8
	s_mul_hi_u32 s9, s16, s8
	s_add_i32 s17, s9, s6
	s_mul_i32 s16, s16, s8
	s_lshl_b64 s[16:17], s[16:17], 1
	s_add_u32 s6, s22, s16
	s_addc_u32 s9, s23, s17
	s_mul_i32 s16, s19, s7
	s_mul_hi_u32 s17, s18, s7
	s_add_i32 s17, s17, s16
	s_mul_i32 s16, s18, s7
	s_lshl_b64 s[16:17], s[16:17], 1
	s_add_u32 s16, s6, s16
	s_addc_u32 s17, s9, s17
	s_sub_u32 s18, s24, s0
	s_subb_u32 s19, s25, s1
	s_add_u32 s22, s12, -1
	s_addc_u32 s23, s13, -1
	v_cmp_ne_u64_e32 vcc, s[22:23], v[0:1]
	v_mov_b32_e32 v6, s18
	v_mov_b32_e32 v7, s19
	s_and_saveexec_b64 s[12:13], vcc
	s_cbranch_execz .LBB7_15
; %bb.14:
	v_mov_b32_e32 v6, 0
	global_load_ushort v8, v6, s[16:17]
	s_xor_b32 s9, s18, s19
	s_xor_b32 s25, s22, s23
	s_flbit_i32 s6, s19
	s_flbit_i32 s24, s23
	s_ashr_i32 s9, s9, 31
	s_ashr_i32 s25, s25, 31
	s_add_i32 s6, s6, -1
	s_add_i32 s24, s24, -1
	s_add_i32 s9, s9, 32
	s_add_i32 s25, s25, 32
	s_min_u32 s6, s6, s9
	s_min_u32 s9, s24, s25
	s_lshl_b64 s[18:19], s[18:19], s6
	s_lshl_b64 s[22:23], s[22:23], s9
	s_min_u32 s18, s18, 1
	s_min_u32 s22, s22, 1
	s_or_b32 s18, s19, s18
	s_or_b32 s19, s23, s22
	v_cvt_f32_i32_e32 v6, s18
	v_cvt_f32_i32_e32 v7, s19
	s_sub_i32 s6, 32, s6
	s_sub_i32 s9, 32, s9
	v_ldexp_f32 v9, v6, s6
	v_ldexp_f32 v12, v7, s9
	v_div_scale_f32 v6, s[18:19], v12, v12, v9
	v_div_scale_f32 v7, vcc, v9, v12, v9
	s_mov_b32 s6, 0x2f800000
	s_mov_b32 s9, 0xcf800000
	v_rcp_f32_e32 v13, v6
	v_fma_f32 v14, -v6, v13, 1.0
	v_fmac_f32_e32 v13, v14, v13
	v_mul_f32_e32 v14, v7, v13
	v_fma_f32 v15, -v6, v14, v7
	v_fmac_f32_e32 v14, v15, v13
	v_fma_f32 v6, -v6, v14, v7
	v_div_fmas_f32 v13, v6, v13, v14
	v_xor_b32_e32 v7, v0, v1
	v_ffbh_i32_e32 v6, v1
	v_ashrrev_i32_e32 v7, 31, v7
	v_add_u32_e32 v6, -1, v6
	v_add_u32_e32 v7, 32, v7
	v_min_u32_e32 v14, v6, v7
	v_lshlrev_b64 v[6:7], v14, v[0:1]
	v_min_u32_e32 v6, 1, v6
	v_or_b32_e32 v6, v7, v6
	v_cvt_f32_i32_e32 v6, v6
	v_sub_u32_e32 v7, 32, v14
	v_ldexp_f32 v6, v6, v7
	v_div_fixup_f32 v7, v13, v12, v9
	s_waitcnt vmcnt(0)
	v_lshlrev_b32_e32 v8, 16, v8
	v_add_f32_e32 v6, v6, v8
	v_mul_f32_e32 v8, v7, v8
	v_mul_f32_e32 v6, v7, v6
	v_trunc_f32_e32 v7, v8
	v_mul_f32_e64 v8, |v7|, s6
	v_trunc_f32_e32 v6, v6
	v_floor_f32_e32 v8, v8
	v_ashrrev_i32_e32 v9, 31, v7
	v_mul_f32_e64 v12, |v6|, s6
	v_fma_f32 v7, v8, s9, |v7|
	v_floor_f32_e32 v12, v12
	v_cvt_u32_f32_e32 v7, v7
	v_ashrrev_i32_e32 v13, 31, v6
	v_cvt_u32_f32_e32 v8, v8
	v_fma_f32 v6, v12, s9, |v6|
	v_cvt_u32_f32_e32 v6, v6
	v_cvt_u32_f32_e32 v12, v12
	v_xor_b32_e32 v7, v7, v9
	v_xor_b32_e32 v8, v8, v9
	v_sub_co_u32_e32 v7, vcc, v9, v7
	v_xor_b32_e32 v6, v6, v13
	v_subb_co_u32_e32 v8, vcc, v9, v8, vcc
	v_xor_b32_e32 v12, v12, v13
	v_sub_co_u32_e32 v6, vcc, v6, v13
	v_subb_co_u32_e32 v9, vcc, v12, v13, vcc
	v_add_co_u32_e32 v6, vcc, v6, v7
	v_addc_co_u32_e32 v7, vcc, v9, v8, vcc
.LBB7_15:
	s_or_b64 exec, exec, s[12:13]
	s_load_dwordx2 s[24:25], s[4:5], 0x20
	s_load_dwordx2 s[12:13], s[4:5], 0x138
	s_waitcnt lgkmcnt(0)
	s_sub_u32 s18, s24, s2
	s_subb_u32 s19, s25, s3
	s_add_u32 s22, s14, -1
	s_addc_u32 s23, s15, -1
	v_cmp_ne_u64_e32 vcc, s[22:23], v[2:3]
	v_mov_b32_e32 v8, s18
	v_mov_b32_e32 v9, s19
	s_and_saveexec_b64 s[14:15], vcc
	s_cbranch_execz .LBB7_17
; %bb.16:
	s_lshl_b64 s[26:27], s[12:13], 1
	s_add_u32 s26, s16, s26
	s_addc_u32 s27, s17, s27
	v_mov_b32_e32 v8, 0
	global_load_ushort v12, v8, s[26:27]
	s_xor_b32 s26, s18, s19
	s_xor_b32 s27, s22, s23
	s_flbit_i32 s6, s19
	s_flbit_i32 s9, s23
	s_ashr_i32 s26, s26, 31
	s_ashr_i32 s27, s27, 31
	s_add_i32 s6, s6, -1
	s_add_i32 s9, s9, -1
	s_add_i32 s26, s26, 32
	s_add_i32 s27, s27, 32
	s_min_u32 s6, s6, s26
	s_min_u32 s9, s9, s27
	s_lshl_b64 s[18:19], s[18:19], s6
	s_lshl_b64 s[22:23], s[22:23], s9
	s_min_u32 s18, s18, 1
	s_min_u32 s22, s22, 1
	s_or_b32 s18, s19, s18
	s_or_b32 s19, s23, s22
	v_cvt_f32_i32_e32 v8, s18
	v_cvt_f32_i32_e32 v9, s19
	s_sub_i32 s6, 32, s6
	s_sub_i32 s9, 32, s9
	v_ldexp_f32 v13, v8, s6
	v_ldexp_f32 v14, v9, s9
	v_div_scale_f32 v8, s[18:19], v14, v14, v13
	v_div_scale_f32 v9, vcc, v13, v14, v13
	s_mov_b32 s6, 0x2f800000
	s_mov_b32 s9, 0xcf800000
	v_rcp_f32_e32 v15, v8
	v_fma_f32 v16, -v8, v15, 1.0
	v_fmac_f32_e32 v15, v16, v15
	v_mul_f32_e32 v16, v9, v15
	v_fma_f32 v17, -v8, v16, v9
	v_fmac_f32_e32 v16, v17, v15
	v_fma_f32 v8, -v8, v16, v9
	v_div_fmas_f32 v15, v8, v15, v16
	v_xor_b32_e32 v9, v2, v3
	v_ffbh_i32_e32 v8, v3
	v_ashrrev_i32_e32 v9, 31, v9
	v_add_u32_e32 v8, -1, v8
	v_add_u32_e32 v9, 32, v9
	v_min_u32_e32 v16, v8, v9
	v_lshlrev_b64 v[8:9], v16, v[2:3]
	v_min_u32_e32 v8, 1, v8
	v_or_b32_e32 v8, v9, v8
	v_cvt_f32_i32_e32 v8, v8
	v_sub_u32_e32 v9, 32, v16
	v_ldexp_f32 v8, v8, v9
	v_div_fixup_f32 v9, v15, v14, v13
	s_waitcnt vmcnt(0)
	v_lshlrev_b32_e32 v12, 16, v12
	v_add_f32_e32 v8, v8, v12
	v_mul_f32_e32 v12, v9, v12
	v_mul_f32_e32 v8, v9, v8
	v_trunc_f32_e32 v9, v12
	v_mul_f32_e64 v12, |v9|, s6
	v_trunc_f32_e32 v8, v8
	v_floor_f32_e32 v12, v12
	v_ashrrev_i32_e32 v13, 31, v9
	v_mul_f32_e64 v14, |v8|, s6
	v_fma_f32 v9, v12, s9, |v9|
	v_floor_f32_e32 v14, v14
	v_cvt_u32_f32_e32 v9, v9
	v_ashrrev_i32_e32 v15, 31, v8
	v_cvt_u32_f32_e32 v12, v12
	v_fma_f32 v8, v14, s9, |v8|
	v_cvt_u32_f32_e32 v8, v8
	v_cvt_u32_f32_e32 v14, v14
	v_xor_b32_e32 v9, v9, v13
	v_xor_b32_e32 v12, v12, v13
	v_sub_co_u32_e32 v9, vcc, v13, v9
	v_xor_b32_e32 v8, v8, v15
	v_subb_co_u32_e32 v12, vcc, v13, v12, vcc
	v_xor_b32_e32 v14, v14, v15
	v_sub_co_u32_e32 v8, vcc, v8, v15
	v_subb_co_u32_e32 v13, vcc, v14, v15, vcc
	v_add_co_u32_e32 v8, vcc, v8, v9
	v_addc_co_u32_e32 v9, vcc, v13, v12, vcc
.LBB7_17:
	s_or_b64 exec, exec, s[14:15]
	s_load_dwordx2 s[22:23], s[4:5], 0x28
	v_mul_lo_u32 v12, v11, s10
	v_mul_lo_u32 v13, v10, s11
	v_mad_u64_u32 v[10:11], s[14:15], v10, s10, 0
	s_waitcnt lgkmcnt(0)
	s_sub_u32 s14, s22, s20
	s_subb_u32 s15, s23, s21
	v_add3_u32 v11, v11, v13, v12
	v_sub_co_u32_e32 v4, vcc, v4, v10
	s_add_u32 s18, s10, -1
	v_subb_co_u32_e32 v5, vcc, v5, v11, vcc
	s_addc_u32 s19, s11, -1
	v_cmp_ne_u64_e32 vcc, s[18:19], v[4:5]
	v_mov_b32_e32 v12, s14
	v_mov_b32_e32 v13, s15
	s_and_saveexec_b64 s[10:11], vcc
	s_cbranch_execz .LBB7_19
; %bb.18:
	s_lshl_b64 s[12:13], s[12:13], 2
	s_add_u32 s12, s16, s12
	s_addc_u32 s13, s17, s13
	v_mov_b32_e32 v10, 0
	global_load_ushort v12, v10, s[12:13]
	s_xor_b32 s12, s14, s15
	s_xor_b32 s13, s18, s19
	s_flbit_i32 s6, s15
	s_flbit_i32 s9, s19
	s_ashr_i32 s12, s12, 31
	s_ashr_i32 s13, s13, 31
	s_add_i32 s6, s6, -1
	s_add_i32 s9, s9, -1
	s_add_i32 s12, s12, 32
	s_add_i32 s13, s13, 32
	s_min_u32 s6, s6, s12
	s_min_u32 s9, s9, s13
	s_lshl_b64 s[12:13], s[14:15], s6
	s_lshl_b64 s[14:15], s[18:19], s9
	s_min_u32 s12, s12, 1
	s_min_u32 s14, s14, 1
	s_or_b32 s12, s13, s12
	s_or_b32 s13, s15, s14
	v_cvt_f32_i32_e32 v10, s12
	v_cvt_f32_i32_e32 v11, s13
	s_sub_i32 s6, 32, s6
	s_sub_i32 s9, 32, s9
	v_ldexp_f32 v13, v10, s6
	v_ldexp_f32 v14, v11, s9
	v_div_scale_f32 v10, s[12:13], v14, v14, v13
	v_div_scale_f32 v11, vcc, v13, v14, v13
	s_mov_b32 s6, 0x2f800000
	s_mov_b32 s9, 0xcf800000
	v_rcp_f32_e32 v15, v10
	v_fma_f32 v16, -v10, v15, 1.0
	v_fmac_f32_e32 v15, v16, v15
	v_mul_f32_e32 v16, v11, v15
	v_fma_f32 v17, -v10, v16, v11
	v_fmac_f32_e32 v16, v17, v15
	v_fma_f32 v10, -v10, v16, v11
	v_div_fmas_f32 v15, v10, v15, v16
	v_ffbh_u32_e32 v10, v5
	v_min_u32_e32 v16, 32, v10
	v_lshlrev_b64 v[10:11], v16, v[4:5]
	v_min_u32_e32 v10, 1, v10
	v_or_b32_e32 v10, v11, v10
	v_cvt_f32_u32_e32 v10, v10
	v_sub_u32_e32 v11, 32, v16
	v_ldexp_f32 v10, v10, v11
	v_div_fixup_f32 v11, v15, v14, v13
	s_waitcnt vmcnt(0)
	v_lshlrev_b32_e32 v12, 16, v12
	v_add_f32_e32 v10, v10, v12
	v_mul_f32_e32 v12, v11, v12
	v_mul_f32_e32 v10, v11, v10
	v_trunc_f32_e32 v11, v12
	v_mul_f32_e64 v12, |v11|, s6
	v_trunc_f32_e32 v10, v10
	v_floor_f32_e32 v12, v12
	v_ashrrev_i32_e32 v13, 31, v11
	v_mul_f32_e64 v14, |v10|, s6
	v_fma_f32 v11, v12, s9, |v11|
	v_floor_f32_e32 v14, v14
	v_cvt_u32_f32_e32 v11, v11
	v_ashrrev_i32_e32 v15, 31, v10
	v_cvt_u32_f32_e32 v12, v12
	v_fma_f32 v10, v14, s9, |v10|
	v_cvt_u32_f32_e32 v10, v10
	v_cvt_u32_f32_e32 v14, v14
	v_xor_b32_e32 v11, v11, v13
	v_xor_b32_e32 v12, v12, v13
	v_sub_co_u32_e32 v11, vcc, v13, v11
	v_xor_b32_e32 v10, v10, v15
	v_subb_co_u32_e32 v13, vcc, v13, v12, vcc
	v_xor_b32_e32 v14, v14, v15
	v_sub_co_u32_e32 v10, vcc, v10, v15
	v_subb_co_u32_e32 v14, vcc, v14, v15, vcc
	v_add_co_u32_e32 v12, vcc, v10, v11
	v_addc_co_u32_e32 v13, vcc, v14, v13, vcc
.LBB7_19:
	s_or_b64 exec, exec, s[10:11]
	v_mad_u64_u32 v[10:11], s[10:11], s24, v6, v[8:9]
	v_mul_lo_u32 v14, s24, v7
	v_mul_lo_u32 v15, s25, v6
	;; [unrolled: 1-line block ×3, first 2 shown]
	v_add3_u32 v11, v15, v11, v14
	v_mad_u64_u32 v[14:15], s[10:11], v10, s22, 0
	v_mul_lo_u32 v10, v11, s22
	v_cmp_lt_i64_e64 s[10:11], s[0:1], 1
	v_add3_u32 v15, v15, v16, v10
	v_add_co_u32_e32 v10, vcc, v12, v14
	v_addc_co_u32_e32 v11, vcc, v13, v15, vcc
	s_and_b64 vcc, exec, s[10:11]
	s_cbranch_vccnz .LBB7_37
; %bb.20:
	v_mov_b32_e32 v17, s1
	v_add_co_u32_e32 v16, vcc, s0, v6
	s_load_dwordx2 s[0:1], s[4:5], 0x50
	v_addc_co_u32_e32 v17, vcc, v7, v17, vcc
	s_load_dwordx8 s[12:19], s[4:5], 0x30
	v_mov_b32_e32 v19, s3
	v_add_co_u32_e32 v18, vcc, s2, v8
	v_cmp_gt_i64_e64 s[26:27], s[2:3], 0
	s_waitcnt lgkmcnt(0)
	v_mul_lo_u32 v24, v13, s0
	v_mul_lo_u32 v25, v12, s1
	v_mad_u64_u32 v[22:23], s[2:3], v12, s0, 0
	v_mul_lo_u32 v26, v9, s18
	v_mul_lo_u32 v27, v8, s19
	v_add3_u32 v23, v23, v25, v24
	v_mad_u64_u32 v[24:25], s[2:3], v8, s18, 0
	v_addc_co_u32_e32 v19, vcc, v9, v19, vcc
	v_add3_u32 v25, v25, v27, v26
	v_mov_b32_e32 v21, s21
	v_add_co_u32_e32 v20, vcc, s20, v12
	v_lshlrev_b64 v[22:23], 1, v[22:23]
	v_lshlrev_b64 v[24:25], 1, v[24:25]
	v_addc_co_u32_e32 v21, vcc, v13, v21, vcc
	s_add_u32 s2, s20, -8
	v_add_co_u32_e32 v24, vcc, v22, v24
	s_addc_u32 s3, s21, -1
	v_addc_co_u32_e32 v25, vcc, v23, v25, vcc
	v_mad_u64_u32 v[22:23], s[28:29], v6, s16, 0
	s_mul_i32 s6, s15, s7
	s_mul_hi_u32 s9, s14, s7
	v_mul_lo_u32 v26, v7, s16
	v_mul_lo_u32 v27, v6, s17
	v_cmp_gt_u64_e64 s[28:29], s[2:3], -7
	s_load_dwordx2 s[2:3], s[4:5], 0x0
	s_add_i32 s15, s9, s6
	s_mul_i32 s6, s13, s8
	s_mul_hi_u32 s9, s12, s8
	s_add_i32 s13, s9, s6
	s_mul_i32 s12, s12, s8
	s_lshl_b64 s[36:37], s[12:13], 1
	s_lshl_b64 s[12:13], s[16:17], 1
	;; [unrolled: 1-line block ×3, first 2 shown]
	s_mul_i32 s0, s24, s23
	s_mul_hi_u32 s1, s24, s22
	s_mul_i32 s14, s14, s7
	s_add_i32 s0, s1, s0
	s_mul_i32 s1, s25, s22
	v_add3_u32 v23, v23, v27, v26
	s_lshl_b64 s[34:35], s[14:15], 1
	s_lshl_b64 s[14:15], s[18:19], 1
	s_add_i32 s6, s0, s1
	v_lshlrev_b64 v[22:23], 1, v[22:23]
	s_waitcnt lgkmcnt(0)
	s_add_u32 s0, s2, s36
	s_addc_u32 s1, s3, s37
	v_add_co_u32_e32 v22, vcc, v24, v22
	s_add_u32 s0, s0, s34
	v_addc_co_u32_e32 v23, vcc, v25, v23, vcc
	s_addc_u32 s1, s1, s35
	v_mov_b32_e32 v24, s1
	v_add_co_u32_e32 v22, vcc, s0, v22
	v_cmp_gt_i64_e64 s[30:31], s[20:21], 0
	v_addc_co_u32_e32 v23, vcc, v24, v23, vcc
	v_mov_b32_e32 v25, v11
	s_mov_b64 s[10:11], 0
	s_mul_i32 s9, s24, s22
	v_mov_b32_e32 v40, 0xffffff80
	v_mov_b32_e32 v24, v10
	s_branch .LBB7_23
.LBB7_21:                               ;   in Loop: Header=BB7_23 Depth=1
	s_or_b64 exec, exec, s[18:19]
	v_mov_b32_e32 v24, v34
	v_mov_b32_e32 v25, v35
	;; [unrolled: 1-line block ×3, first 2 shown]
.LBB7_22:                               ;   in Loop: Header=BB7_23 Depth=1
	v_add_co_u32_e32 v6, vcc, 1, v6
	v_addc_co_u32_e32 v7, vcc, 0, v7, vcc
	v_mov_b32_e32 v26, s6
	v_add_co_u32_e32 v10, vcc, s9, v10
	v_addc_co_u32_e32 v11, vcc, v11, v26, vcc
	v_add_co_u32_e32 v14, vcc, s9, v14
	v_addc_co_u32_e32 v15, vcc, v15, v26, vcc
	v_cmp_ge_i64_e32 vcc, v[6:7], v[16:17]
	v_mov_b32_e32 v26, s13
	s_or_b64 s[10:11], vcc, s[10:11]
	v_add_co_u32_e32 v22, vcc, s12, v22
	v_addc_co_u32_e32 v23, vcc, v23, v26, vcc
	s_andn2_b64 exec, exec, s[10:11]
	s_cbranch_execz .LBB7_36
.LBB7_23:                               ; =>This Loop Header: Depth=1
                                        ;     Child Loop BB7_27 Depth 2
                                        ;       Child Loop BB7_29 Depth 3
                                        ;       Child Loop BB7_34 Depth 3
	s_andn2_b64 vcc, exec, s[26:27]
	s_cbranch_vccnz .LBB7_22
; %bb.24:                               ;   in Loop: Header=BB7_23 Depth=1
	v_mov_b32_e32 v27, v23
	v_mov_b32_e32 v29, v15
	v_mov_b32_e32 v31, v11
	v_mov_b32_e32 v33, v9
	s_mov_b64 s[18:19], 0
	v_mov_b32_e32 v26, v22
	v_mov_b32_e32 v28, v14
	;; [unrolled: 1-line block ×4, first 2 shown]
	s_branch .LBB7_27
.LBB7_25:                               ;   in Loop: Header=BB7_27 Depth=2
	v_mov_b32_e32 v35, v25
	v_mov_b32_e32 v41, v40
	v_mov_b32_e32 v34, v24
.LBB7_26:                               ;   in Loop: Header=BB7_27 Depth=2
	v_add_co_u32_e32 v32, vcc, 1, v32
	v_addc_co_u32_e32 v33, vcc, 0, v33, vcc
	v_mov_b32_e32 v24, s15
	v_add_co_u32_e32 v26, vcc, s14, v26
	v_addc_co_u32_e32 v27, vcc, v27, v24, vcc
	v_mov_b32_e32 v24, s23
	v_add_co_u32_e32 v30, vcc, s22, v30
	v_addc_co_u32_e32 v31, vcc, v31, v24, vcc
	v_cmp_ge_i64_e32 vcc, v[32:33], v[18:19]
	v_add_co_u32_e64 v28, s[0:1], s22, v28
	v_addc_co_u32_e64 v29, s[0:1], v29, v24, s[0:1]
	v_mov_b32_e32 v24, v34
	s_or_b64 s[18:19], vcc, s[18:19]
	v_mov_b32_e32 v25, v35
	v_mov_b32_e32 v40, v41
	s_andn2_b64 exec, exec, s[18:19]
	s_cbranch_execz .LBB7_21
.LBB7_27:                               ;   Parent Loop BB7_23 Depth=1
                                        ; =>  This Loop Header: Depth=2
                                        ;       Child Loop BB7_29 Depth 3
                                        ;       Child Loop BB7_34 Depth 3
	v_cndmask_b32_e64 v34, 0, 1, s[30:31]
	s_mov_b64 s[2:3], -1
	s_andn2_b64 vcc, exec, s[28:29]
	v_cmp_ne_u32_e64 s[0:1], 1, v34
                                        ; implicit-def: $vgpr34_vgpr35
                                        ; implicit-def: $vgpr41
	s_cbranch_vccnz .LBB7_31
; %bb.28:                               ;   in Loop: Header=BB7_27 Depth=2
	v_mov_b32_e32 v35, v25
	v_mov_b32_e32 v37, v31
	;; [unrolled: 1-line block ×3, first 2 shown]
	s_and_b64 vcc, exec, s[0:1]
	v_mov_b32_e32 v34, v24
	v_mov_b32_e32 v41, v40
	;; [unrolled: 1-line block ×4, first 2 shown]
	s_mov_b64 s[24:25], s[20:21]
	s_cbranch_vccnz .LBB7_30
.LBB7_29:                               ;   Parent Loop BB7_23 Depth=1
                                        ;     Parent Loop BB7_27 Depth=2
                                        ; =>    This Inner Loop Header: Depth=3
	global_load_ushort v42, v[38:39], off
	v_mov_b32_e32 v44, s17
	v_add_co_u32_e32 v38, vcc, s16, v38
	v_lshlrev_b32_e32 v43, 16, v41
	v_addc_co_u32_e32 v39, vcc, v39, v44, vcc
	s_waitcnt vmcnt(0)
	v_lshlrev_b32_e32 v44, 16, v42
	v_cmp_gt_f32_e32 vcc, v44, v43
	v_cmp_u_f32_e64 s[2:3], v44, v44
	s_or_b64 vcc, vcc, s[2:3]
	s_add_u32 s24, s24, -1
	v_cndmask_b32_e32 v41, v41, v42, vcc
	v_cndmask_b32_e32 v35, v35, v37, vcc
	;; [unrolled: 1-line block ×3, first 2 shown]
	v_add_co_u32_e32 v36, vcc, 1, v36
	s_addc_u32 s25, s25, -1
	s_cmp_lg_u64 s[24:25], 0
	v_addc_co_u32_e32 v37, vcc, 0, v37, vcc
	s_cbranch_scc1 .LBB7_29
.LBB7_30:                               ;   in Loop: Header=BB7_27 Depth=2
	s_mov_b64 s[2:3], 0
.LBB7_31:                               ;   in Loop: Header=BB7_27 Depth=2
	s_andn2_b64 vcc, exec, s[2:3]
	s_cbranch_vccnz .LBB7_26
; %bb.32:                               ;   in Loop: Header=BB7_27 Depth=2
	s_and_b64 vcc, exec, s[0:1]
	s_cbranch_vccnz .LBB7_25
; %bb.33:                               ;   in Loop: Header=BB7_27 Depth=2
	v_mov_b32_e32 v35, v27
	v_mov_b32_e32 v37, v13
	s_mov_b64 s[24:25], 0
	v_mov_b32_e32 v34, v26
	v_mov_b32_e32 v36, v12
.LBB7_34:                               ;   Parent Loop BB7_23 Depth=1
                                        ;     Parent Loop BB7_27 Depth=2
                                        ; =>    This Inner Loop Header: Depth=3
	global_load_ushort v38, v[34:35], off
	v_add_co_u32_e32 v41, vcc, v28, v36
	v_addc_co_u32_e32 v42, vcc, v29, v37, vcc
	v_add_co_u32_e32 v36, vcc, 1, v36
	v_addc_co_u32_e32 v37, vcc, 0, v37, vcc
	v_mov_b32_e32 v43, s17
	v_add_co_u32_e32 v34, vcc, s16, v34
	v_lshlrev_b32_e32 v39, 16, v40
	v_addc_co_u32_e32 v35, vcc, v35, v43, vcc
	v_cmp_ge_i64_e32 vcc, v[36:37], v[20:21]
	s_waitcnt vmcnt(0)
	v_lshlrev_b32_e32 v43, 16, v38
	v_cmp_gt_f32_e64 s[0:1], v43, v39
	v_cmp_u_f32_e64 s[2:3], v43, v43
	s_or_b64 s[0:1], s[0:1], s[2:3]
	v_cndmask_b32_e64 v40, v40, v38, s[0:1]
	v_cndmask_b32_e64 v25, v25, v42, s[0:1]
	s_or_b64 s[24:25], vcc, s[24:25]
	v_cndmask_b32_e64 v24, v24, v41, s[0:1]
	s_andn2_b64 exec, exec, s[24:25]
	s_cbranch_execnz .LBB7_34
; %bb.35:                               ;   in Loop: Header=BB7_27 Depth=2
	s_or_b64 exec, exec, s[24:25]
	s_branch .LBB7_25
.LBB7_36:
	s_or_b64 exec, exec, s[10:11]
	v_mov_b32_e32 v10, v24
	v_mov_b32_e32 v11, v25
	s_branch .LBB7_38
.LBB7_37:
	v_mov_b32_e32 v40, 0xffffff80
.LBB7_38:
	s_load_dwordx8 s[20:27], s[4:5], 0xe0
	s_load_dwordx4 s[0:3], s[4:5], 0xa8
	s_load_dwordx2 s[10:11], s[4:5], 0x58
	s_load_dwordx8 s[12:19], s[4:5], 0x88
	s_load_dwordx2 s[28:29], s[4:5], 0x100
	s_waitcnt lgkmcnt(0)
	s_mul_i32 s4, s21, s8
	s_mul_hi_u32 s5, s20, s8
	s_add_i32 s5, s5, s4
	s_mul_i32 s4, s20, s8
	s_lshl_b64 s[4:5], s[4:5], 3
	s_add_u32 s6, s2, s4
	s_addc_u32 s9, s3, s5
	s_mul_i32 s2, s23, s7
	s_mul_hi_u32 s3, s22, s7
	s_add_i32 s3, s3, s2
	s_mul_i32 s2, s22, s7
	v_mul_lo_u32 v8, s25, v0
	v_mul_lo_u32 v9, s24, v1
	v_mad_u64_u32 v[6:7], s[4:5], s24, v0, 0
	s_lshl_b64 s[2:3], s[2:3], 3
	s_add_u32 s4, s6, s2
	s_addc_u32 s2, s9, s3
	v_add3_u32 v7, v7, v9, v8
	v_mov_b32_e32 v12, s2
	v_mul_lo_u32 v13, s27, v2
	v_mul_lo_u32 v14, s26, v3
	v_mad_u64_u32 v[8:9], s[2:3], s26, v2, 0
	v_lshlrev_b64 v[6:7], 3, v[6:7]
	v_add_co_u32_e32 v15, vcc, s4, v6
	v_add3_u32 v9, v9, v14, v13
	v_addc_co_u32_e32 v12, vcc, v12, v7, vcc
	v_lshlrev_b64 v[6:7], 3, v[8:9]
	v_mul_lo_u32 v13, s29, v4
	v_mul_lo_u32 v14, s28, v5
	v_mad_u64_u32 v[8:9], s[2:3], s28, v4, 0
	v_add_co_u32_e32 v15, vcc, v15, v6
	v_add3_u32 v9, v9, v14, v13
	s_mul_i32 s2, s13, s8
	s_mul_hi_u32 s3, s12, s8
	v_addc_co_u32_e32 v12, vcc, v12, v7, vcc
	v_lshlrev_b64 v[6:7], 3, v[8:9]
	s_add_i32 s3, s3, s2
	s_mul_i32 s2, s12, s8
	s_lshl_b64 s[2:3], s[2:3], 1
	v_add_co_u32_e32 v6, vcc, v15, v6
	s_add_u32 s6, s10, s2
	v_addc_co_u32_e32 v7, vcc, v12, v7, vcc
	s_addc_u32 s8, s11, s3
	s_mul_i32 s2, s15, s7
	s_mul_hi_u32 s3, s14, s7
	global_store_dwordx2 v[6:7], v[10:11], off
	s_add_i32 s3, s3, s2
	s_mul_i32 s2, s14, s7
	v_mul_lo_u32 v6, s17, v0
	v_mul_lo_u32 v7, s16, v1
	v_mad_u64_u32 v[0:1], s[4:5], s16, v0, 0
	s_lshl_b64 s[2:3], s[2:3], 1
	s_add_u32 s4, s6, s2
	s_addc_u32 s2, s8, s3
	v_add3_u32 v1, v1, v7, v6
	v_mov_b32_e32 v6, s2
	v_mul_lo_u32 v7, s19, v2
	v_mul_lo_u32 v8, s18, v3
	v_mad_u64_u32 v[2:3], s[2:3], s18, v2, 0
	v_lshlrev_b64 v[0:1], 1, v[0:1]
	v_mul_lo_u32 v5, s0, v5
	v_add_co_u32_e32 v9, vcc, s4, v0
	v_add3_u32 v3, v3, v8, v7
	v_addc_co_u32_e32 v6, vcc, v6, v1, vcc
	v_lshlrev_b64 v[0:1], 1, v[2:3]
	v_mul_lo_u32 v7, s1, v4
	v_mad_u64_u32 v[2:3], s[0:1], s0, v4, 0
	v_add_co_u32_e32 v4, vcc, v9, v0
	v_add3_u32 v3, v3, v5, v7
	v_addc_co_u32_e32 v6, vcc, v6, v1, vcc
	v_lshlrev_b64 v[0:1], 1, v[2:3]
	v_add_co_u32_e32 v0, vcc, v4, v0
	v_addc_co_u32_e32 v1, vcc, v6, v1, vcc
	global_store_short v[0:1], v40, off
.LBB7_39:
	s_endpgm
	.section	.rodata,"a",@progbits
	.p2align	6, 0x0
	.amdhsa_kernel _ZN2at6native12_GLOBAL__N_131fractional_max_pool3d_out_frameIN3c108BFloat16EEEvN5torch10headeronly6detail27GenericPackedTensorAccessorINS7_14TensorAccessorINS3_8ArrayRefIlEEKT_Lm4ENS6_16DefaultPtrTraitsElEENS_6detail16IndexBoundsCheckILm5ElEESD_Lm5ESE_lEENS8_INS9_ISB_SC_Lm4ESE_lEESI_SC_Lm5ESE_lEENS8_INS9_ISB_lLm4ESE_lEESI_lLm5ESE_lEENS8_INS9_ISB_SD_Lm2ESE_lEENSH_ILm3ElEESD_Lm3ESE_lEElll
		.amdhsa_group_segment_fixed_size 0
		.amdhsa_private_segment_fixed_size 0
		.amdhsa_kernarg_size 600
		.amdhsa_user_sgpr_count 6
		.amdhsa_user_sgpr_private_segment_buffer 1
		.amdhsa_user_sgpr_dispatch_ptr 0
		.amdhsa_user_sgpr_queue_ptr 0
		.amdhsa_user_sgpr_kernarg_segment_ptr 1
		.amdhsa_user_sgpr_dispatch_id 0
		.amdhsa_user_sgpr_flat_scratch_init 0
		.amdhsa_user_sgpr_private_segment_size 0
		.amdhsa_uses_dynamic_stack 0
		.amdhsa_system_sgpr_private_segment_wavefront_offset 0
		.amdhsa_system_sgpr_workgroup_id_x 1
		.amdhsa_system_sgpr_workgroup_id_y 1
		.amdhsa_system_sgpr_workgroup_id_z 1
		.amdhsa_system_sgpr_workgroup_info 0
		.amdhsa_system_vgpr_workitem_id 0
		.amdhsa_next_free_vgpr 45
		.amdhsa_next_free_sgpr 38
		.amdhsa_reserve_vcc 1
		.amdhsa_reserve_flat_scratch 0
		.amdhsa_float_round_mode_32 0
		.amdhsa_float_round_mode_16_64 0
		.amdhsa_float_denorm_mode_32 3
		.amdhsa_float_denorm_mode_16_64 3
		.amdhsa_dx10_clamp 1
		.amdhsa_ieee_mode 1
		.amdhsa_fp16_overflow 0
		.amdhsa_exception_fp_ieee_invalid_op 0
		.amdhsa_exception_fp_denorm_src 0
		.amdhsa_exception_fp_ieee_div_zero 0
		.amdhsa_exception_fp_ieee_overflow 0
		.amdhsa_exception_fp_ieee_underflow 0
		.amdhsa_exception_fp_ieee_inexact 0
		.amdhsa_exception_int_div_zero 0
	.end_amdhsa_kernel
	.section	.text._ZN2at6native12_GLOBAL__N_131fractional_max_pool3d_out_frameIN3c108BFloat16EEEvN5torch10headeronly6detail27GenericPackedTensorAccessorINS7_14TensorAccessorINS3_8ArrayRefIlEEKT_Lm4ENS6_16DefaultPtrTraitsElEENS_6detail16IndexBoundsCheckILm5ElEESD_Lm5ESE_lEENS8_INS9_ISB_SC_Lm4ESE_lEESI_SC_Lm5ESE_lEENS8_INS9_ISB_lLm4ESE_lEESI_lLm5ESE_lEENS8_INS9_ISB_SD_Lm2ESE_lEENSH_ILm3ElEESD_Lm3ESE_lEElll,"axG",@progbits,_ZN2at6native12_GLOBAL__N_131fractional_max_pool3d_out_frameIN3c108BFloat16EEEvN5torch10headeronly6detail27GenericPackedTensorAccessorINS7_14TensorAccessorINS3_8ArrayRefIlEEKT_Lm4ENS6_16DefaultPtrTraitsElEENS_6detail16IndexBoundsCheckILm5ElEESD_Lm5ESE_lEENS8_INS9_ISB_SC_Lm4ESE_lEESI_SC_Lm5ESE_lEENS8_INS9_ISB_lLm4ESE_lEESI_lLm5ESE_lEENS8_INS9_ISB_SD_Lm2ESE_lEENSH_ILm3ElEESD_Lm3ESE_lEElll,comdat
.Lfunc_end7:
	.size	_ZN2at6native12_GLOBAL__N_131fractional_max_pool3d_out_frameIN3c108BFloat16EEEvN5torch10headeronly6detail27GenericPackedTensorAccessorINS7_14TensorAccessorINS3_8ArrayRefIlEEKT_Lm4ENS6_16DefaultPtrTraitsElEENS_6detail16IndexBoundsCheckILm5ElEESD_Lm5ESE_lEENS8_INS9_ISB_SC_Lm4ESE_lEESI_SC_Lm5ESE_lEENS8_INS9_ISB_lLm4ESE_lEESI_lLm5ESE_lEENS8_INS9_ISB_SD_Lm2ESE_lEENSH_ILm3ElEESD_Lm3ESE_lEElll, .Lfunc_end7-_ZN2at6native12_GLOBAL__N_131fractional_max_pool3d_out_frameIN3c108BFloat16EEEvN5torch10headeronly6detail27GenericPackedTensorAccessorINS7_14TensorAccessorINS3_8ArrayRefIlEEKT_Lm4ENS6_16DefaultPtrTraitsElEENS_6detail16IndexBoundsCheckILm5ElEESD_Lm5ESE_lEENS8_INS9_ISB_SC_Lm4ESE_lEESI_SC_Lm5ESE_lEENS8_INS9_ISB_lLm4ESE_lEESI_lLm5ESE_lEENS8_INS9_ISB_SD_Lm2ESE_lEENSH_ILm3ElEESD_Lm3ESE_lEElll
                                        ; -- End function
	.set _ZN2at6native12_GLOBAL__N_131fractional_max_pool3d_out_frameIN3c108BFloat16EEEvN5torch10headeronly6detail27GenericPackedTensorAccessorINS7_14TensorAccessorINS3_8ArrayRefIlEEKT_Lm4ENS6_16DefaultPtrTraitsElEENS_6detail16IndexBoundsCheckILm5ElEESD_Lm5ESE_lEENS8_INS9_ISB_SC_Lm4ESE_lEESI_SC_Lm5ESE_lEENS8_INS9_ISB_lLm4ESE_lEESI_lLm5ESE_lEENS8_INS9_ISB_SD_Lm2ESE_lEENSH_ILm3ElEESD_Lm3ESE_lEElll.num_vgpr, 45
	.set _ZN2at6native12_GLOBAL__N_131fractional_max_pool3d_out_frameIN3c108BFloat16EEEvN5torch10headeronly6detail27GenericPackedTensorAccessorINS7_14TensorAccessorINS3_8ArrayRefIlEEKT_Lm4ENS6_16DefaultPtrTraitsElEENS_6detail16IndexBoundsCheckILm5ElEESD_Lm5ESE_lEENS8_INS9_ISB_SC_Lm4ESE_lEESI_SC_Lm5ESE_lEENS8_INS9_ISB_lLm4ESE_lEESI_lLm5ESE_lEENS8_INS9_ISB_SD_Lm2ESE_lEENSH_ILm3ElEESD_Lm3ESE_lEElll.num_agpr, 0
	.set _ZN2at6native12_GLOBAL__N_131fractional_max_pool3d_out_frameIN3c108BFloat16EEEvN5torch10headeronly6detail27GenericPackedTensorAccessorINS7_14TensorAccessorINS3_8ArrayRefIlEEKT_Lm4ENS6_16DefaultPtrTraitsElEENS_6detail16IndexBoundsCheckILm5ElEESD_Lm5ESE_lEENS8_INS9_ISB_SC_Lm4ESE_lEESI_SC_Lm5ESE_lEENS8_INS9_ISB_lLm4ESE_lEESI_lLm5ESE_lEENS8_INS9_ISB_SD_Lm2ESE_lEENSH_ILm3ElEESD_Lm3ESE_lEElll.numbered_sgpr, 38
	.set _ZN2at6native12_GLOBAL__N_131fractional_max_pool3d_out_frameIN3c108BFloat16EEEvN5torch10headeronly6detail27GenericPackedTensorAccessorINS7_14TensorAccessorINS3_8ArrayRefIlEEKT_Lm4ENS6_16DefaultPtrTraitsElEENS_6detail16IndexBoundsCheckILm5ElEESD_Lm5ESE_lEENS8_INS9_ISB_SC_Lm4ESE_lEESI_SC_Lm5ESE_lEENS8_INS9_ISB_lLm4ESE_lEESI_lLm5ESE_lEENS8_INS9_ISB_SD_Lm2ESE_lEENSH_ILm3ElEESD_Lm3ESE_lEElll.num_named_barrier, 0
	.set _ZN2at6native12_GLOBAL__N_131fractional_max_pool3d_out_frameIN3c108BFloat16EEEvN5torch10headeronly6detail27GenericPackedTensorAccessorINS7_14TensorAccessorINS3_8ArrayRefIlEEKT_Lm4ENS6_16DefaultPtrTraitsElEENS_6detail16IndexBoundsCheckILm5ElEESD_Lm5ESE_lEENS8_INS9_ISB_SC_Lm4ESE_lEESI_SC_Lm5ESE_lEENS8_INS9_ISB_lLm4ESE_lEESI_lLm5ESE_lEENS8_INS9_ISB_SD_Lm2ESE_lEENSH_ILm3ElEESD_Lm3ESE_lEElll.private_seg_size, 0
	.set _ZN2at6native12_GLOBAL__N_131fractional_max_pool3d_out_frameIN3c108BFloat16EEEvN5torch10headeronly6detail27GenericPackedTensorAccessorINS7_14TensorAccessorINS3_8ArrayRefIlEEKT_Lm4ENS6_16DefaultPtrTraitsElEENS_6detail16IndexBoundsCheckILm5ElEESD_Lm5ESE_lEENS8_INS9_ISB_SC_Lm4ESE_lEESI_SC_Lm5ESE_lEENS8_INS9_ISB_lLm4ESE_lEESI_lLm5ESE_lEENS8_INS9_ISB_SD_Lm2ESE_lEENSH_ILm3ElEESD_Lm3ESE_lEElll.uses_vcc, 1
	.set _ZN2at6native12_GLOBAL__N_131fractional_max_pool3d_out_frameIN3c108BFloat16EEEvN5torch10headeronly6detail27GenericPackedTensorAccessorINS7_14TensorAccessorINS3_8ArrayRefIlEEKT_Lm4ENS6_16DefaultPtrTraitsElEENS_6detail16IndexBoundsCheckILm5ElEESD_Lm5ESE_lEENS8_INS9_ISB_SC_Lm4ESE_lEESI_SC_Lm5ESE_lEENS8_INS9_ISB_lLm4ESE_lEESI_lLm5ESE_lEENS8_INS9_ISB_SD_Lm2ESE_lEENSH_ILm3ElEESD_Lm3ESE_lEElll.uses_flat_scratch, 0
	.set _ZN2at6native12_GLOBAL__N_131fractional_max_pool3d_out_frameIN3c108BFloat16EEEvN5torch10headeronly6detail27GenericPackedTensorAccessorINS7_14TensorAccessorINS3_8ArrayRefIlEEKT_Lm4ENS6_16DefaultPtrTraitsElEENS_6detail16IndexBoundsCheckILm5ElEESD_Lm5ESE_lEENS8_INS9_ISB_SC_Lm4ESE_lEESI_SC_Lm5ESE_lEENS8_INS9_ISB_lLm4ESE_lEESI_lLm5ESE_lEENS8_INS9_ISB_SD_Lm2ESE_lEENSH_ILm3ElEESD_Lm3ESE_lEElll.has_dyn_sized_stack, 0
	.set _ZN2at6native12_GLOBAL__N_131fractional_max_pool3d_out_frameIN3c108BFloat16EEEvN5torch10headeronly6detail27GenericPackedTensorAccessorINS7_14TensorAccessorINS3_8ArrayRefIlEEKT_Lm4ENS6_16DefaultPtrTraitsElEENS_6detail16IndexBoundsCheckILm5ElEESD_Lm5ESE_lEENS8_INS9_ISB_SC_Lm4ESE_lEESI_SC_Lm5ESE_lEENS8_INS9_ISB_lLm4ESE_lEESI_lLm5ESE_lEENS8_INS9_ISB_SD_Lm2ESE_lEENSH_ILm3ElEESD_Lm3ESE_lEElll.has_recursion, 0
	.set _ZN2at6native12_GLOBAL__N_131fractional_max_pool3d_out_frameIN3c108BFloat16EEEvN5torch10headeronly6detail27GenericPackedTensorAccessorINS7_14TensorAccessorINS3_8ArrayRefIlEEKT_Lm4ENS6_16DefaultPtrTraitsElEENS_6detail16IndexBoundsCheckILm5ElEESD_Lm5ESE_lEENS8_INS9_ISB_SC_Lm4ESE_lEESI_SC_Lm5ESE_lEENS8_INS9_ISB_lLm4ESE_lEESI_lLm5ESE_lEENS8_INS9_ISB_SD_Lm2ESE_lEENSH_ILm3ElEESD_Lm3ESE_lEElll.has_indirect_call, 0
	.section	.AMDGPU.csdata,"",@progbits
; Kernel info:
; codeLenInByte = 5272
; TotalNumSgprs: 42
; NumVgprs: 45
; ScratchSize: 0
; MemoryBound: 0
; FloatMode: 240
; IeeeMode: 1
; LDSByteSize: 0 bytes/workgroup (compile time only)
; SGPRBlocks: 5
; VGPRBlocks: 11
; NumSGPRsForWavesPerEU: 42
; NumVGPRsForWavesPerEU: 45
; Occupancy: 5
; WaveLimiterHint : 1
; COMPUTE_PGM_RSRC2:SCRATCH_EN: 0
; COMPUTE_PGM_RSRC2:USER_SGPR: 6
; COMPUTE_PGM_RSRC2:TRAP_HANDLER: 0
; COMPUTE_PGM_RSRC2:TGID_X_EN: 1
; COMPUTE_PGM_RSRC2:TGID_Y_EN: 1
; COMPUTE_PGM_RSRC2:TGID_Z_EN: 1
; COMPUTE_PGM_RSRC2:TIDIG_COMP_CNT: 0
	.section	.AMDGPU.gpr_maximums,"",@progbits
	.set amdgpu.max_num_vgpr, 0
	.set amdgpu.max_num_agpr, 0
	.set amdgpu.max_num_sgpr, 0
	.section	.AMDGPU.csdata,"",@progbits
	.type	__hip_cuid_d3d065be6217aecf,@object ; @__hip_cuid_d3d065be6217aecf
	.section	.bss,"aw",@nobits
	.globl	__hip_cuid_d3d065be6217aecf
__hip_cuid_d3d065be6217aecf:
	.byte	0                               ; 0x0
	.size	__hip_cuid_d3d065be6217aecf, 1

	.ident	"AMD clang version 22.0.0git (https://github.com/RadeonOpenCompute/llvm-project roc-7.2.4 26084 f58b06dce1f9c15707c5f808fd002e18c2accf7e)"
	.section	".note.GNU-stack","",@progbits
	.addrsig
	.addrsig_sym __hip_cuid_d3d065be6217aecf
	.amdgpu_metadata
---
amdhsa.kernels:
  - .args:
      - .offset:         0
        .size:           88
        .value_kind:     by_value
      - .offset:         88
        .size:           88
        .value_kind:     by_value
      - .offset:         176
        .size:           88
        .value_kind:     by_value
      - .offset:         264
        .size:           4
        .value_kind:     hidden_block_count_x
      - .offset:         268
        .size:           4
        .value_kind:     hidden_block_count_y
      - .offset:         272
        .size:           4
        .value_kind:     hidden_block_count_z
      - .offset:         276
        .size:           2
        .value_kind:     hidden_group_size_x
      - .offset:         278
        .size:           2
        .value_kind:     hidden_group_size_y
      - .offset:         280
        .size:           2
        .value_kind:     hidden_group_size_z
      - .offset:         282
        .size:           2
        .value_kind:     hidden_remainder_x
      - .offset:         284
        .size:           2
        .value_kind:     hidden_remainder_y
      - .offset:         286
        .size:           2
        .value_kind:     hidden_remainder_z
      - .offset:         304
        .size:           8
        .value_kind:     hidden_global_offset_x
      - .offset:         312
        .size:           8
        .value_kind:     hidden_global_offset_y
      - .offset:         320
        .size:           8
        .value_kind:     hidden_global_offset_z
      - .offset:         328
        .size:           2
        .value_kind:     hidden_grid_dims
    .group_segment_fixed_size: 0
    .kernarg_segment_align: 8
    .kernarg_segment_size: 520
    .language:       OpenCL C
    .language_version:
      - 2
      - 0
    .max_flat_workgroup_size: 1024
    .name:           _ZN2at6native12_GLOBAL__N_140fractional_max_pool3d_backward_out_frameIdEEvN5torch10headeronly6detail27GenericPackedTensorAccessorINS5_14TensorAccessorIN3c108ArrayRefIlEET_Lm4ENS4_16DefaultPtrTraitsElEENS_6detail16IndexBoundsCheckILm5ElEESB_Lm5ESC_lEENS6_INS7_ISA_KSB_Lm4ESC_lEESG_SI_Lm5ESC_lEENS6_INS7_ISA_KlLm4ESC_lEESG_SL_Lm5ESC_lEE
    .private_segment_fixed_size: 0
    .sgpr_count:     33
    .sgpr_spill_count: 0
    .symbol:         _ZN2at6native12_GLOBAL__N_140fractional_max_pool3d_backward_out_frameIdEEvN5torch10headeronly6detail27GenericPackedTensorAccessorINS5_14TensorAccessorIN3c108ArrayRefIlEET_Lm4ENS4_16DefaultPtrTraitsElEENS_6detail16IndexBoundsCheckILm5ElEESB_Lm5ESC_lEENS6_INS7_ISA_KSB_Lm4ESC_lEESG_SI_Lm5ESC_lEENS6_INS7_ISA_KlLm4ESC_lEESG_SL_Lm5ESC_lEE.kd
    .uniform_work_group_size: 1
    .uses_dynamic_stack: false
    .vgpr_count:     22
    .vgpr_spill_count: 0
    .wavefront_size: 64
  - .args:
      - .offset:         0
        .size:           88
        .value_kind:     by_value
      - .offset:         88
        .size:           88
        .value_kind:     by_value
      - .offset:         176
        .size:           88
        .value_kind:     by_value
      - .offset:         264
        .size:           4
        .value_kind:     hidden_block_count_x
      - .offset:         268
        .size:           4
        .value_kind:     hidden_block_count_y
      - .offset:         272
        .size:           4
        .value_kind:     hidden_block_count_z
      - .offset:         276
        .size:           2
        .value_kind:     hidden_group_size_x
      - .offset:         278
        .size:           2
        .value_kind:     hidden_group_size_y
      - .offset:         280
        .size:           2
        .value_kind:     hidden_group_size_z
      - .offset:         282
        .size:           2
        .value_kind:     hidden_remainder_x
      - .offset:         284
        .size:           2
        .value_kind:     hidden_remainder_y
      - .offset:         286
        .size:           2
        .value_kind:     hidden_remainder_z
      - .offset:         304
        .size:           8
        .value_kind:     hidden_global_offset_x
      - .offset:         312
        .size:           8
        .value_kind:     hidden_global_offset_y
      - .offset:         320
        .size:           8
        .value_kind:     hidden_global_offset_z
      - .offset:         328
        .size:           2
        .value_kind:     hidden_grid_dims
    .group_segment_fixed_size: 0
    .kernarg_segment_align: 8
    .kernarg_segment_size: 520
    .language:       OpenCL C
    .language_version:
      - 2
      - 0
    .max_flat_workgroup_size: 1024
    .name:           _ZN2at6native12_GLOBAL__N_140fractional_max_pool3d_backward_out_frameIfEEvN5torch10headeronly6detail27GenericPackedTensorAccessorINS5_14TensorAccessorIN3c108ArrayRefIlEET_Lm4ENS4_16DefaultPtrTraitsElEENS_6detail16IndexBoundsCheckILm5ElEESB_Lm5ESC_lEENS6_INS7_ISA_KSB_Lm4ESC_lEESG_SI_Lm5ESC_lEENS6_INS7_ISA_KlLm4ESC_lEESG_SL_Lm5ESC_lEE
    .private_segment_fixed_size: 0
    .sgpr_count:     33
    .sgpr_spill_count: 0
    .symbol:         _ZN2at6native12_GLOBAL__N_140fractional_max_pool3d_backward_out_frameIfEEvN5torch10headeronly6detail27GenericPackedTensorAccessorINS5_14TensorAccessorIN3c108ArrayRefIlEET_Lm4ENS4_16DefaultPtrTraitsElEENS_6detail16IndexBoundsCheckILm5ElEESB_Lm5ESC_lEENS6_INS7_ISA_KSB_Lm4ESC_lEESG_SI_Lm5ESC_lEENS6_INS7_ISA_KlLm4ESC_lEESG_SL_Lm5ESC_lEE.kd
    .uniform_work_group_size: 1
    .uses_dynamic_stack: false
    .vgpr_count:     22
    .vgpr_spill_count: 0
    .wavefront_size: 64
  - .args:
      - .offset:         0
        .size:           88
        .value_kind:     by_value
      - .offset:         88
        .size:           88
        .value_kind:     by_value
      - .offset:         176
        .size:           88
        .value_kind:     by_value
      - .offset:         264
        .size:           4
        .value_kind:     hidden_block_count_x
      - .offset:         268
        .size:           4
        .value_kind:     hidden_block_count_y
      - .offset:         272
        .size:           4
        .value_kind:     hidden_block_count_z
      - .offset:         276
        .size:           2
        .value_kind:     hidden_group_size_x
      - .offset:         278
        .size:           2
        .value_kind:     hidden_group_size_y
      - .offset:         280
        .size:           2
        .value_kind:     hidden_group_size_z
      - .offset:         282
        .size:           2
        .value_kind:     hidden_remainder_x
      - .offset:         284
        .size:           2
        .value_kind:     hidden_remainder_y
      - .offset:         286
        .size:           2
        .value_kind:     hidden_remainder_z
      - .offset:         304
        .size:           8
        .value_kind:     hidden_global_offset_x
      - .offset:         312
        .size:           8
        .value_kind:     hidden_global_offset_y
      - .offset:         320
        .size:           8
        .value_kind:     hidden_global_offset_z
      - .offset:         328
        .size:           2
        .value_kind:     hidden_grid_dims
    .group_segment_fixed_size: 0
    .kernarg_segment_align: 8
    .kernarg_segment_size: 520
    .language:       OpenCL C
    .language_version:
      - 2
      - 0
    .max_flat_workgroup_size: 1024
    .name:           _ZN2at6native12_GLOBAL__N_140fractional_max_pool3d_backward_out_frameIN3c104HalfEEEvN5torch10headeronly6detail27GenericPackedTensorAccessorINS7_14TensorAccessorINS3_8ArrayRefIlEET_Lm4ENS6_16DefaultPtrTraitsElEENS_6detail16IndexBoundsCheckILm5ElEESC_Lm5ESD_lEENS8_INS9_ISB_KSC_Lm4ESD_lEESH_SJ_Lm5ESD_lEENS8_INS9_ISB_KlLm4ESD_lEESH_SM_Lm5ESD_lEE
    .private_segment_fixed_size: 0
    .sgpr_count:     33
    .sgpr_spill_count: 0
    .symbol:         _ZN2at6native12_GLOBAL__N_140fractional_max_pool3d_backward_out_frameIN3c104HalfEEEvN5torch10headeronly6detail27GenericPackedTensorAccessorINS7_14TensorAccessorINS3_8ArrayRefIlEET_Lm4ENS6_16DefaultPtrTraitsElEENS_6detail16IndexBoundsCheckILm5ElEESC_Lm5ESD_lEENS8_INS9_ISB_KSC_Lm4ESD_lEESH_SJ_Lm5ESD_lEENS8_INS9_ISB_KlLm4ESD_lEESH_SM_Lm5ESD_lEE.kd
    .uniform_work_group_size: 1
    .uses_dynamic_stack: false
    .vgpr_count:     22
    .vgpr_spill_count: 0
    .wavefront_size: 64
  - .args:
      - .offset:         0
        .size:           88
        .value_kind:     by_value
      - .offset:         88
        .size:           88
        .value_kind:     by_value
      - .offset:         176
        .size:           88
        .value_kind:     by_value
      - .offset:         264
        .size:           4
        .value_kind:     hidden_block_count_x
      - .offset:         268
        .size:           4
        .value_kind:     hidden_block_count_y
      - .offset:         272
        .size:           4
        .value_kind:     hidden_block_count_z
      - .offset:         276
        .size:           2
        .value_kind:     hidden_group_size_x
      - .offset:         278
        .size:           2
        .value_kind:     hidden_group_size_y
      - .offset:         280
        .size:           2
        .value_kind:     hidden_group_size_z
      - .offset:         282
        .size:           2
        .value_kind:     hidden_remainder_x
      - .offset:         284
        .size:           2
        .value_kind:     hidden_remainder_y
      - .offset:         286
        .size:           2
        .value_kind:     hidden_remainder_z
      - .offset:         304
        .size:           8
        .value_kind:     hidden_global_offset_x
      - .offset:         312
        .size:           8
        .value_kind:     hidden_global_offset_y
      - .offset:         320
        .size:           8
        .value_kind:     hidden_global_offset_z
      - .offset:         328
        .size:           2
        .value_kind:     hidden_grid_dims
    .group_segment_fixed_size: 0
    .kernarg_segment_align: 8
    .kernarg_segment_size: 520
    .language:       OpenCL C
    .language_version:
      - 2
      - 0
    .max_flat_workgroup_size: 1024
    .name:           _ZN2at6native12_GLOBAL__N_140fractional_max_pool3d_backward_out_frameIN3c108BFloat16EEEvN5torch10headeronly6detail27GenericPackedTensorAccessorINS7_14TensorAccessorINS3_8ArrayRefIlEET_Lm4ENS6_16DefaultPtrTraitsElEENS_6detail16IndexBoundsCheckILm5ElEESC_Lm5ESD_lEENS8_INS9_ISB_KSC_Lm4ESD_lEESH_SJ_Lm5ESD_lEENS8_INS9_ISB_KlLm4ESD_lEESH_SM_Lm5ESD_lEE
    .private_segment_fixed_size: 0
    .sgpr_count:     33
    .sgpr_spill_count: 0
    .symbol:         _ZN2at6native12_GLOBAL__N_140fractional_max_pool3d_backward_out_frameIN3c108BFloat16EEEvN5torch10headeronly6detail27GenericPackedTensorAccessorINS7_14TensorAccessorINS3_8ArrayRefIlEET_Lm4ENS6_16DefaultPtrTraitsElEENS_6detail16IndexBoundsCheckILm5ElEESC_Lm5ESD_lEENS8_INS9_ISB_KSC_Lm4ESD_lEESH_SJ_Lm5ESD_lEENS8_INS9_ISB_KlLm4ESD_lEESH_SM_Lm5ESD_lEE.kd
    .uniform_work_group_size: 1
    .uses_dynamic_stack: false
    .vgpr_count:     22
    .vgpr_spill_count: 0
    .wavefront_size: 64
  - .args:
      - .offset:         0
        .size:           88
        .value_kind:     by_value
      - .offset:         88
        .size:           88
        .value_kind:     by_value
      - .offset:         176
        .size:           88
        .value_kind:     by_value
      - .offset:         264
        .size:           56
        .value_kind:     by_value
      - .offset:         320
        .size:           8
        .value_kind:     by_value
      - .offset:         328
        .size:           8
        .value_kind:     by_value
      - .offset:         336
        .size:           8
        .value_kind:     by_value
      - .offset:         344
        .size:           4
        .value_kind:     hidden_block_count_x
      - .offset:         348
        .size:           4
        .value_kind:     hidden_block_count_y
      - .offset:         352
        .size:           4
        .value_kind:     hidden_block_count_z
      - .offset:         356
        .size:           2
        .value_kind:     hidden_group_size_x
      - .offset:         358
        .size:           2
        .value_kind:     hidden_group_size_y
      - .offset:         360
        .size:           2
        .value_kind:     hidden_group_size_z
      - .offset:         362
        .size:           2
        .value_kind:     hidden_remainder_x
      - .offset:         364
        .size:           2
        .value_kind:     hidden_remainder_y
      - .offset:         366
        .size:           2
        .value_kind:     hidden_remainder_z
      - .offset:         384
        .size:           8
        .value_kind:     hidden_global_offset_x
      - .offset:         392
        .size:           8
        .value_kind:     hidden_global_offset_y
      - .offset:         400
        .size:           8
        .value_kind:     hidden_global_offset_z
      - .offset:         408
        .size:           2
        .value_kind:     hidden_grid_dims
    .group_segment_fixed_size: 0
    .kernarg_segment_align: 8
    .kernarg_segment_size: 600
    .language:       OpenCL C
    .language_version:
      - 2
      - 0
    .max_flat_workgroup_size: 1024
    .name:           _ZN2at6native12_GLOBAL__N_131fractional_max_pool3d_out_frameIdEEvN5torch10headeronly6detail27GenericPackedTensorAccessorINS5_14TensorAccessorIN3c108ArrayRefIlEEKT_Lm4ENS4_16DefaultPtrTraitsElEENS_6detail16IndexBoundsCheckILm5ElEESC_Lm5ESD_lEENS6_INS7_ISA_SB_Lm4ESD_lEESH_SB_Lm5ESD_lEENS6_INS7_ISA_lLm4ESD_lEESH_lLm5ESD_lEENS6_INS7_ISA_SC_Lm2ESD_lEENSG_ILm3ElEESC_Lm3ESD_lEElll
    .private_segment_fixed_size: 0
    .sgpr_count:     42
    .sgpr_spill_count: 0
    .symbol:         _ZN2at6native12_GLOBAL__N_131fractional_max_pool3d_out_frameIdEEvN5torch10headeronly6detail27GenericPackedTensorAccessorINS5_14TensorAccessorIN3c108ArrayRefIlEEKT_Lm4ENS4_16DefaultPtrTraitsElEENS_6detail16IndexBoundsCheckILm5ElEESC_Lm5ESD_lEENS6_INS7_ISA_SB_Lm4ESD_lEESH_SB_Lm5ESD_lEENS6_INS7_ISA_lLm4ESD_lEESH_lLm5ESD_lEENS6_INS7_ISA_SC_Lm2ESD_lEENSG_ILm3ElEESC_Lm3ESD_lEElll.kd
    .uniform_work_group_size: 1
    .uses_dynamic_stack: false
    .vgpr_count:     47
    .vgpr_spill_count: 0
    .wavefront_size: 64
  - .args:
      - .offset:         0
        .size:           88
        .value_kind:     by_value
      - .offset:         88
        .size:           88
        .value_kind:     by_value
      - .offset:         176
        .size:           88
        .value_kind:     by_value
      - .offset:         264
        .size:           56
        .value_kind:     by_value
      - .offset:         320
        .size:           8
        .value_kind:     by_value
      - .offset:         328
        .size:           8
        .value_kind:     by_value
      - .offset:         336
        .size:           8
        .value_kind:     by_value
      - .offset:         344
        .size:           4
        .value_kind:     hidden_block_count_x
      - .offset:         348
        .size:           4
        .value_kind:     hidden_block_count_y
      - .offset:         352
        .size:           4
        .value_kind:     hidden_block_count_z
      - .offset:         356
        .size:           2
        .value_kind:     hidden_group_size_x
      - .offset:         358
        .size:           2
        .value_kind:     hidden_group_size_y
      - .offset:         360
        .size:           2
        .value_kind:     hidden_group_size_z
      - .offset:         362
        .size:           2
        .value_kind:     hidden_remainder_x
      - .offset:         364
        .size:           2
        .value_kind:     hidden_remainder_y
      - .offset:         366
        .size:           2
        .value_kind:     hidden_remainder_z
      - .offset:         384
        .size:           8
        .value_kind:     hidden_global_offset_x
      - .offset:         392
        .size:           8
        .value_kind:     hidden_global_offset_y
      - .offset:         400
        .size:           8
        .value_kind:     hidden_global_offset_z
      - .offset:         408
        .size:           2
        .value_kind:     hidden_grid_dims
    .group_segment_fixed_size: 0
    .kernarg_segment_align: 8
    .kernarg_segment_size: 600
    .language:       OpenCL C
    .language_version:
      - 2
      - 0
    .max_flat_workgroup_size: 1024
    .name:           _ZN2at6native12_GLOBAL__N_131fractional_max_pool3d_out_frameIfEEvN5torch10headeronly6detail27GenericPackedTensorAccessorINS5_14TensorAccessorIN3c108ArrayRefIlEEKT_Lm4ENS4_16DefaultPtrTraitsElEENS_6detail16IndexBoundsCheckILm5ElEESC_Lm5ESD_lEENS6_INS7_ISA_SB_Lm4ESD_lEESH_SB_Lm5ESD_lEENS6_INS7_ISA_lLm4ESD_lEESH_lLm5ESD_lEENS6_INS7_ISA_SC_Lm2ESD_lEENSG_ILm3ElEESC_Lm3ESD_lEElll
    .private_segment_fixed_size: 0
    .sgpr_count:     42
    .sgpr_spill_count: 0
    .symbol:         _ZN2at6native12_GLOBAL__N_131fractional_max_pool3d_out_frameIfEEvN5torch10headeronly6detail27GenericPackedTensorAccessorINS5_14TensorAccessorIN3c108ArrayRefIlEEKT_Lm4ENS4_16DefaultPtrTraitsElEENS_6detail16IndexBoundsCheckILm5ElEESC_Lm5ESD_lEENS6_INS7_ISA_SB_Lm4ESD_lEESH_SB_Lm5ESD_lEENS6_INS7_ISA_lLm4ESD_lEESH_lLm5ESD_lEENS6_INS7_ISA_SC_Lm2ESD_lEENSG_ILm3ElEESC_Lm3ESD_lEElll.kd
    .uniform_work_group_size: 1
    .uses_dynamic_stack: false
    .vgpr_count:     44
    .vgpr_spill_count: 0
    .wavefront_size: 64
  - .args:
      - .offset:         0
        .size:           88
        .value_kind:     by_value
      - .offset:         88
        .size:           88
        .value_kind:     by_value
      - .offset:         176
        .size:           88
        .value_kind:     by_value
      - .offset:         264
        .size:           56
        .value_kind:     by_value
      - .offset:         320
        .size:           8
        .value_kind:     by_value
      - .offset:         328
        .size:           8
        .value_kind:     by_value
      - .offset:         336
        .size:           8
        .value_kind:     by_value
      - .offset:         344
        .size:           4
        .value_kind:     hidden_block_count_x
      - .offset:         348
        .size:           4
        .value_kind:     hidden_block_count_y
      - .offset:         352
        .size:           4
        .value_kind:     hidden_block_count_z
      - .offset:         356
        .size:           2
        .value_kind:     hidden_group_size_x
      - .offset:         358
        .size:           2
        .value_kind:     hidden_group_size_y
      - .offset:         360
        .size:           2
        .value_kind:     hidden_group_size_z
      - .offset:         362
        .size:           2
        .value_kind:     hidden_remainder_x
      - .offset:         364
        .size:           2
        .value_kind:     hidden_remainder_y
      - .offset:         366
        .size:           2
        .value_kind:     hidden_remainder_z
      - .offset:         384
        .size:           8
        .value_kind:     hidden_global_offset_x
      - .offset:         392
        .size:           8
        .value_kind:     hidden_global_offset_y
      - .offset:         400
        .size:           8
        .value_kind:     hidden_global_offset_z
      - .offset:         408
        .size:           2
        .value_kind:     hidden_grid_dims
    .group_segment_fixed_size: 0
    .kernarg_segment_align: 8
    .kernarg_segment_size: 600
    .language:       OpenCL C
    .language_version:
      - 2
      - 0
    .max_flat_workgroup_size: 1024
    .name:           _ZN2at6native12_GLOBAL__N_131fractional_max_pool3d_out_frameIN3c104HalfEEEvN5torch10headeronly6detail27GenericPackedTensorAccessorINS7_14TensorAccessorINS3_8ArrayRefIlEEKT_Lm4ENS6_16DefaultPtrTraitsElEENS_6detail16IndexBoundsCheckILm5ElEESD_Lm5ESE_lEENS8_INS9_ISB_SC_Lm4ESE_lEESI_SC_Lm5ESE_lEENS8_INS9_ISB_lLm4ESE_lEESI_lLm5ESE_lEENS8_INS9_ISB_SD_Lm2ESE_lEENSH_ILm3ElEESD_Lm3ESE_lEElll
    .private_segment_fixed_size: 0
    .sgpr_count:     42
    .sgpr_spill_count: 0
    .symbol:         _ZN2at6native12_GLOBAL__N_131fractional_max_pool3d_out_frameIN3c104HalfEEEvN5torch10headeronly6detail27GenericPackedTensorAccessorINS7_14TensorAccessorINS3_8ArrayRefIlEEKT_Lm4ENS6_16DefaultPtrTraitsElEENS_6detail16IndexBoundsCheckILm5ElEESD_Lm5ESE_lEENS8_INS9_ISB_SC_Lm4ESE_lEESI_SC_Lm5ESE_lEENS8_INS9_ISB_lLm4ESE_lEESI_lLm5ESE_lEENS8_INS9_ISB_SD_Lm2ESE_lEENSH_ILm3ElEESD_Lm3ESE_lEElll.kd
    .uniform_work_group_size: 1
    .uses_dynamic_stack: false
    .vgpr_count:     44
    .vgpr_spill_count: 0
    .wavefront_size: 64
  - .args:
      - .offset:         0
        .size:           88
        .value_kind:     by_value
      - .offset:         88
        .size:           88
        .value_kind:     by_value
      - .offset:         176
        .size:           88
        .value_kind:     by_value
      - .offset:         264
        .size:           56
        .value_kind:     by_value
      - .offset:         320
        .size:           8
        .value_kind:     by_value
      - .offset:         328
        .size:           8
        .value_kind:     by_value
      - .offset:         336
        .size:           8
        .value_kind:     by_value
      - .offset:         344
        .size:           4
        .value_kind:     hidden_block_count_x
      - .offset:         348
        .size:           4
        .value_kind:     hidden_block_count_y
      - .offset:         352
        .size:           4
        .value_kind:     hidden_block_count_z
      - .offset:         356
        .size:           2
        .value_kind:     hidden_group_size_x
      - .offset:         358
        .size:           2
        .value_kind:     hidden_group_size_y
      - .offset:         360
        .size:           2
        .value_kind:     hidden_group_size_z
      - .offset:         362
        .size:           2
        .value_kind:     hidden_remainder_x
      - .offset:         364
        .size:           2
        .value_kind:     hidden_remainder_y
      - .offset:         366
        .size:           2
        .value_kind:     hidden_remainder_z
      - .offset:         384
        .size:           8
        .value_kind:     hidden_global_offset_x
      - .offset:         392
        .size:           8
        .value_kind:     hidden_global_offset_y
      - .offset:         400
        .size:           8
        .value_kind:     hidden_global_offset_z
      - .offset:         408
        .size:           2
        .value_kind:     hidden_grid_dims
    .group_segment_fixed_size: 0
    .kernarg_segment_align: 8
    .kernarg_segment_size: 600
    .language:       OpenCL C
    .language_version:
      - 2
      - 0
    .max_flat_workgroup_size: 1024
    .name:           _ZN2at6native12_GLOBAL__N_131fractional_max_pool3d_out_frameIN3c108BFloat16EEEvN5torch10headeronly6detail27GenericPackedTensorAccessorINS7_14TensorAccessorINS3_8ArrayRefIlEEKT_Lm4ENS6_16DefaultPtrTraitsElEENS_6detail16IndexBoundsCheckILm5ElEESD_Lm5ESE_lEENS8_INS9_ISB_SC_Lm4ESE_lEESI_SC_Lm5ESE_lEENS8_INS9_ISB_lLm4ESE_lEESI_lLm5ESE_lEENS8_INS9_ISB_SD_Lm2ESE_lEENSH_ILm3ElEESD_Lm3ESE_lEElll
    .private_segment_fixed_size: 0
    .sgpr_count:     42
    .sgpr_spill_count: 0
    .symbol:         _ZN2at6native12_GLOBAL__N_131fractional_max_pool3d_out_frameIN3c108BFloat16EEEvN5torch10headeronly6detail27GenericPackedTensorAccessorINS7_14TensorAccessorINS3_8ArrayRefIlEEKT_Lm4ENS6_16DefaultPtrTraitsElEENS_6detail16IndexBoundsCheckILm5ElEESD_Lm5ESE_lEENS8_INS9_ISB_SC_Lm4ESE_lEESI_SC_Lm5ESE_lEENS8_INS9_ISB_lLm4ESE_lEESI_lLm5ESE_lEENS8_INS9_ISB_SD_Lm2ESE_lEENSH_ILm3ElEESD_Lm3ESE_lEElll.kd
    .uniform_work_group_size: 1
    .uses_dynamic_stack: false
    .vgpr_count:     45
    .vgpr_spill_count: 0
    .wavefront_size: 64
amdhsa.target:   amdgcn-amd-amdhsa--gfx906
amdhsa.version:
  - 1
  - 2
...

	.end_amdgpu_metadata
